;; amdgpu-corpus repo=ROCm/rocFFT kind=compiled arch=gfx1201 opt=O3
	.text
	.amdgcn_target "amdgcn-amd-amdhsa--gfx1201"
	.amdhsa_code_object_version 6
	.protected	bluestein_single_back_len936_dim1_dp_op_CI_CI ; -- Begin function bluestein_single_back_len936_dim1_dp_op_CI_CI
	.globl	bluestein_single_back_len936_dim1_dp_op_CI_CI
	.p2align	8
	.type	bluestein_single_back_len936_dim1_dp_op_CI_CI,@function
bluestein_single_back_len936_dim1_dp_op_CI_CI: ; @bluestein_single_back_len936_dim1_dp_op_CI_CI
; %bb.0:
	s_load_b128 s[12:15], s[0:1], 0x28
	v_mul_u32_u24_e32 v1, 0x349, v0
	s_mov_b32 s2, exec_lo
	s_delay_alu instid0(VALU_DEP_1) | instskip(NEXT) | instid1(VALU_DEP_1)
	v_lshrrev_b32_e32 v1, 16, v1
	v_mad_co_u64_u32 v[236:237], null, ttmp9, 3, v[1:2]
	v_mov_b32_e32 v237, 0
                                        ; kill: def $vgpr2 killed $sgpr0 killed $exec
	s_wait_kmcnt 0x0
	s_delay_alu instid0(VALU_DEP_1)
	v_cmpx_gt_u64_e64 s[12:13], v[236:237]
	s_cbranch_execz .LBB0_10
; %bb.1:
	s_clause 0x1
	s_load_b128 s[4:7], s[0:1], 0x18
	s_load_b128 s[8:11], s[0:1], 0x0
	v_mul_lo_u16 v1, 0x4e, v1
	s_movk_i32 s2, 0xe7a0
	s_mov_b32 s3, -1
	v_mul_hi_u32 v16, 0xaaaaaaab, v236
	s_delay_alu instid0(VALU_DEP_2) | instskip(NEXT) | instid1(VALU_DEP_1)
	v_sub_nc_u16 v0, v0, v1
	v_and_b32_e32 v255, 0xffff, v0
	s_delay_alu instid0(VALU_DEP_3) | instskip(NEXT) | instid1(VALU_DEP_2)
	v_lshrrev_b32_e32 v16, 1, v16
	v_add_co_u32 v230, null, 0xea, v255
	s_wait_kmcnt 0x0
	s_load_b128 s[16:19], s[4:5], 0x0
	s_wait_kmcnt 0x0
	v_mad_co_u64_u32 v[2:3], null, s18, v236, 0
	v_mad_co_u64_u32 v[4:5], null, s16, v255, 0
	s_mul_u64 s[4:5], s[16:17], 0x1d40
	s_mul_u64 s[2:3], s[16:17], s[2:3]
	s_delay_alu instid0(VALU_DEP_2) | instskip(NEXT) | instid1(VALU_DEP_2)
	v_mov_b32_e32 v1, v3
	v_mov_b32_e32 v3, v5
	s_delay_alu instid0(VALU_DEP_2) | instskip(NEXT) | instid1(VALU_DEP_2)
	v_mad_co_u64_u32 v[5:6], null, s19, v236, v[1:2]
	v_mad_co_u64_u32 v[6:7], null, s17, v255, v[3:4]
	v_lshlrev_b32_e32 v1, 4, v255
	s_clause 0x1
	global_load_b128 v[17:20], v1, s[8:9]
	global_load_b128 v[21:24], v1, s[8:9] offset:1248
	v_mov_b32_e32 v3, v5
	v_mov_b32_e32 v5, v6
	s_clause 0x7
	global_load_b128 v[25:28], v1, s[8:9] offset:7488
	global_load_b128 v[29:32], v1, s[8:9] offset:8736
	;; [unrolled: 1-line block ×8, first 2 shown]
	v_lshlrev_b64_e32 v[2:3], 4, v[2:3]
	v_lshlrev_b64_e32 v[4:5], 4, v[4:5]
	s_delay_alu instid0(VALU_DEP_2) | instskip(NEXT) | instid1(VALU_DEP_3)
	v_add_co_u32 v2, vcc_lo, s14, v2
	v_add_co_ci_u32_e32 v3, vcc_lo, s15, v3, vcc_lo
	s_delay_alu instid0(VALU_DEP_2) | instskip(SKIP_1) | instid1(VALU_DEP_2)
	v_add_co_u32 v2, vcc_lo, v2, v4
	s_wait_alu 0xfffd
	v_add_co_ci_u32_e32 v3, vcc_lo, v3, v5, vcc_lo
	s_delay_alu instid0(VALU_DEP_2) | instskip(SKIP_1) | instid1(VALU_DEP_2)
	v_add_co_u32 v6, vcc_lo, v2, s4
	s_wait_alu 0xfffd
	;; [unrolled: 4-line block ×3, first 2 shown]
	v_add_co_ci_u32_e32 v11, vcc_lo, s3, v7, vcc_lo
	s_clause 0x1
	global_load_b128 v[2:5], v[2:3], off
	global_load_b128 v[6:9], v[6:7], off
	v_add_co_u32 v14, vcc_lo, v10, s4
	s_wait_alu 0xfffd
	v_add_co_ci_u32_e32 v15, vcc_lo, s5, v11, vcc_lo
	s_clause 0x1
	global_load_b128 v[10:13], v[10:11], off
	global_load_b128 v[48:51], v[14:15], off
	v_add_co_u32 v40, vcc_lo, v14, s2
	s_wait_alu 0xfffd
	v_add_co_ci_u32_e32 v41, vcc_lo, s3, v15, vcc_lo
	s_delay_alu instid0(VALU_DEP_2) | instskip(SKIP_1) | instid1(VALU_DEP_2)
	v_add_co_u32 v42, vcc_lo, v40, s4
	s_wait_alu 0xfffd
	v_add_co_ci_u32_e32 v43, vcc_lo, s5, v41, vcc_lo
	global_load_b128 v[52:55], v[40:41], off
	v_add_co_u32 v14, vcc_lo, v42, s2
	s_wait_alu 0xfffd
	v_add_co_ci_u32_e32 v15, vcc_lo, s3, v43, vcc_lo
	global_load_b128 v[56:59], v[42:43], off
	;; [unrolled: 4-line block ×5, first 2 shown]
	v_add_co_u32 v44, vcc_lo, v14, s2
	s_wait_alu 0xfffd
	v_add_co_ci_u32_e32 v45, vcc_lo, s3, v15, vcc_lo
	s_delay_alu instid0(VALU_DEP_2) | instskip(SKIP_1) | instid1(VALU_DEP_2)
	v_add_co_u32 v80, vcc_lo, v44, s4
	s_wait_alu 0xfffd
	v_add_co_ci_u32_e32 v81, vcc_lo, s5, v45, vcc_lo
	global_load_b128 v[72:75], v[14:15], off
	global_load_b128 v[37:40], v1, s[8:9] offset:6240
	global_load_b128 v[76:79], v[44:45], off
	global_load_b128 v[41:44], v1, s[8:9] offset:13728
	global_load_b128 v[80:83], v[80:81], off
	s_load_b128 s[4:7], s[6:7], 0x0
	v_cmp_gt_u16_e32 vcc_lo, 0x48, v0
	s_wait_loadcnt 0x17
	scratch_store_b128 off, v[17:20], off   ; 16-byte Folded Spill
	s_wait_loadcnt 0x16
	scratch_store_b128 off, v[21:24], off offset:16 ; 16-byte Folded Spill
	s_wait_loadcnt 0x15
	scratch_store_b128 off, v[25:28], off offset:32 ; 16-byte Folded Spill
	;; [unrolled: 2-line block ×9, first 2 shown]
	s_wait_loadcnt 0xd
	v_mul_f64_e32 v[14:15], v[4:5], v[19:20]
	v_mul_f64_e32 v[84:85], v[2:3], v[19:20]
	s_wait_loadcnt 0xc
	v_mul_f64_e32 v[86:87], v[8:9], v[27:28]
	v_mul_f64_e32 v[88:89], v[6:7], v[27:28]
	;; [unrolled: 3-line block ×9, first 2 shown]
	v_fma_f64 v[2:3], v[2:3], v[17:18], v[14:15]
	v_fma_f64 v[4:5], v[4:5], v[17:18], -v[84:85]
	v_fma_f64 v[6:7], v[6:7], v[25:26], v[86:87]
	v_fma_f64 v[8:9], v[8:9], v[25:26], -v[88:89]
	s_wait_loadcnt 0x4
	v_mul_f64_e32 v[118:119], v[74:75], v[148:149]
	v_mul_f64_e32 v[120:121], v[72:73], v[148:149]
	s_wait_loadcnt 0x2
	v_mul_f64_e32 v[122:123], v[78:79], v[39:40]
	v_mul_f64_e32 v[124:125], v[76:77], v[39:40]
	;; [unrolled: 3-line block ×3, first 2 shown]
	v_fma_f64 v[84:85], v[10:11], v[21:22], v[90:91]
	v_fma_f64 v[86:87], v[12:13], v[21:22], -v[92:93]
	v_fma_f64 v[48:49], v[48:49], v[29:30], v[94:95]
	v_fma_f64 v[50:51], v[50:51], v[29:30], -v[96:97]
	v_lshl_add_u32 v10, v16, 1, v16
	s_clause 0x1
	scratch_store_b128 off, v[37:40], off offset:160
	scratch_store_b128 off, v[41:44], off offset:176
	v_fma_f64 v[52:53], v[52:53], v[33:34], v[98:99]
	v_fma_f64 v[54:55], v[54:55], v[33:34], -v[100:101]
	v_sub_nc_u32_e32 v10, v236, v10
	v_add_co_u32 v15, s2, 0x4e, v255
	v_fma_f64 v[56:57], v[56:57], v[134:135], v[102:103]
	v_fma_f64 v[58:59], v[58:59], v[134:135], -v[104:105]
	s_delay_alu instid0(VALU_DEP_4)
	v_mul_u32_u24_e32 v10, 0x3a8, v10
	s_wait_alu 0xf1ff
	v_add_co_ci_u32_e64 v40, null, 0, 0, s2
	v_fma_f64 v[60:61], v[60:61], v[130:131], v[106:107]
	v_fma_f64 v[62:63], v[62:63], v[130:131], -v[108:109]
	v_lshlrev_b32_e32 v13, 4, v10
	v_add_co_u32 v231, s2, 0x9c, v255
	v_fma_f64 v[64:65], v[64:65], v[138:139], v[110:111]
	v_fma_f64 v[66:67], v[66:67], v[138:139], -v[112:113]
	s_delay_alu instid0(VALU_DEP_4)
	v_add_nc_u32_e32 v12, v1, v13
	s_wait_alu 0xf1ff
	v_add_co_ci_u32_e64 v10, null, 0, 0, s2
	v_fma_f64 v[68:69], v[68:69], v[142:143], v[114:115]
	v_fma_f64 v[70:71], v[70:71], v[142:143], -v[116:117]
	v_add_co_u32 v234, s2, 0x138, v255
	s_wait_alu 0xf1ff
	v_add_co_ci_u32_e64 v10, null, 0, 0, s2
	v_fma_f64 v[72:73], v[72:73], v[146:147], v[118:119]
	v_fma_f64 v[76:77], v[76:77], v[37:38], v[122:123]
	v_fma_f64 v[78:79], v[78:79], v[37:38], -v[124:125]
	v_fma_f64 v[74:75], v[74:75], v[146:147], -v[120:121]
	v_fma_f64 v[80:81], v[80:81], v[41:42], v[126:127]
	v_fma_f64 v[82:83], v[82:83], v[41:42], -v[128:129]
	v_and_b32_e32 v10, 1, v255
	v_add_co_u32 v235, s2, 0x186, v255
	s_wait_alu 0xf1ff
	v_add_co_ci_u32_e64 v11, null, 0, 0, s2
	s_delay_alu instid0(VALU_DEP_3)
	v_lshlrev_b32_e32 v11, 4, v10
	v_lshl_add_u32 v16, v255, 5, v13
	v_lshl_add_u32 v14, v15, 5, v13
	v_lshl_add_u32 v229, v231, 5, v13
	v_lshl_add_u32 v228, v230, 5, v13
	v_lshl_add_u32 v227, v234, 5, v13
	v_lshl_add_u32 v226, v235, 5, v13
	s_load_b64 s[2:3], s[0:1], 0x38
	v_lshlrev_b32_e32 v41, 1, v255
	v_add_co_u32 v192, s0, s8, v1
	v_lshlrev_b32_e32 v232, 1, v15
	v_lshlrev_b32_e32 v0, 1, v231
	ds_store_b128 v12, v[2:5]
	ds_store_b128 v12, v[84:87] offset:1248
	ds_store_b128 v12, v[6:9] offset:7488
	;; [unrolled: 1-line block ×11, first 2 shown]
	global_wb scope:SCOPE_SE
	s_wait_storecnt_dscnt 0x0
	s_wait_kmcnt 0x0
	s_barrier_signal -1
	s_barrier_wait -1
	global_inv scope:SCOPE_SE
	ds_load_b128 v[2:5], v12 offset:7488
	ds_load_b128 v[6:9], v12
	ds_load_b128 v[48:51], v12 offset:1248
	ds_load_b128 v[52:55], v12 offset:8736
	;; [unrolled: 1-line block ×10, first 2 shown]
	global_wb scope:SCOPE_SE
	s_wait_dscnt 0x0
	s_barrier_signal -1
	s_barrier_wait -1
	global_inv scope:SCOPE_SE
	v_lshlrev_b32_e32 v1, 1, v230
	v_and_or_b32 v0, 0x3fc, v0, v10
	s_wait_alu 0xf1ff
	v_add_co_ci_u32_e64 v193, null, s9, 0, s0
	v_add_f64_e64 v[2:3], v[6:7], -v[2:3]
	v_add_f64_e64 v[4:5], v[8:9], -v[4:5]
	;; [unrolled: 1-line block ×12, first 2 shown]
	v_and_or_b32 v1, 0x3fc, v1, v10
	v_lshl_add_u32 v252, v0, 4, v13
	s_delay_alu instid0(VALU_DEP_2)
	v_lshl_add_u32 v251, v1, 4, v13
	v_fma_f64 v[6:7], v[6:7], 2.0, -v[2:3]
	v_fma_f64 v[8:9], v[8:9], 2.0, -v[4:5]
	v_fma_f64 v[48:49], v[48:49], 2.0, -v[52:53]
	v_fma_f64 v[50:51], v[50:51], 2.0, -v[54:55]
	v_fma_f64 v[60:61], v[60:61], 2.0, -v[56:57]
	v_fma_f64 v[62:63], v[62:63], 2.0, -v[58:59]
	v_fma_f64 v[64:65], v[64:65], 2.0, -v[68:69]
	v_fma_f64 v[66:67], v[66:67], 2.0, -v[70:71]
	v_fma_f64 v[76:77], v[76:77], 2.0, -v[72:73]
	v_fma_f64 v[78:79], v[78:79], 2.0, -v[74:75]
	v_fma_f64 v[80:81], v[80:81], 2.0, -v[84:85]
	v_fma_f64 v[82:83], v[82:83], 2.0, -v[86:87]
	ds_store_b128 v16, v[6:9]
	ds_store_b128 v16, v[2:5] offset:16
	ds_store_b128 v14, v[48:51]
	scratch_store_b32 off, v14, off offset:192 ; 4-byte Folded Spill
	ds_store_b128 v14, v[52:55] offset:16
	ds_store_b128 v229, v[60:63]
	ds_store_b128 v229, v[56:59] offset:16
	ds_store_b128 v228, v[64:67]
	;; [unrolled: 2-line block ×4, first 2 shown]
	ds_store_b128 v226, v[84:87] offset:16
	global_wb scope:SCOPE_SE
	s_wait_storecnt_dscnt 0x0
	s_barrier_signal -1
	s_barrier_wait -1
	global_inv scope:SCOPE_SE
	global_load_b128 v[56:59], v11, s[10:11]
	ds_load_b128 v[2:5], v12 offset:7488
	ds_load_b128 v[6:9], v12 offset:8736
	ds_load_b128 v[48:51], v12 offset:9984
	ds_load_b128 v[52:55], v12 offset:11232
	ds_load_b128 v[60:63], v12 offset:12480
	ds_load_b128 v[64:67], v12 offset:13728
	s_wait_loadcnt_dscnt 0x5
	v_mul_f64_e32 v[68:69], v[4:5], v[58:59]
	v_mul_f64_e32 v[70:71], v[2:3], v[58:59]
	s_wait_dscnt 0x4
	v_mul_f64_e32 v[72:73], v[8:9], v[58:59]
	v_mul_f64_e32 v[74:75], v[6:7], v[58:59]
	s_wait_dscnt 0x3
	;; [unrolled: 3-line block ×5, first 2 shown]
	v_mul_f64_e32 v[88:89], v[66:67], v[58:59]
	v_mul_f64_e32 v[90:91], v[64:65], v[58:59]
	v_fma_f64 v[68:69], v[2:3], v[56:57], -v[68:69]
	v_fma_f64 v[70:71], v[4:5], v[56:57], v[70:71]
	v_fma_f64 v[72:73], v[6:7], v[56:57], -v[72:73]
	v_fma_f64 v[74:75], v[8:9], v[56:57], v[74:75]
	;; [unrolled: 2-line block ×6, first 2 shown]
	ds_load_b128 v[2:5], v12
	ds_load_b128 v[6:9], v12 offset:1248
	ds_load_b128 v[48:51], v12 offset:2496
	;; [unrolled: 1-line block ×5, first 2 shown]
	global_wb scope:SCOPE_SE
	s_wait_dscnt 0x0
	s_barrier_signal -1
	s_barrier_wait -1
	global_inv scope:SCOPE_SE
	v_add_f64_e64 v[68:69], v[2:3], -v[68:69]
	v_add_f64_e64 v[70:71], v[4:5], -v[70:71]
	;; [unrolled: 1-line block ×12, first 2 shown]
	v_fma_f64 v[52:53], v[2:3], 2.0, -v[68:69]
	v_fma_f64 v[54:55], v[4:5], 2.0, -v[70:71]
	;; [unrolled: 1-line block ×12, first 2 shown]
	v_lshlrev_b32_e32 v2, 1, v234
	v_lshlrev_b32_e32 v3, 1, v235
	v_and_or_b32 v4, 0xfc, v41, v10
	v_and_or_b32 v5, 0x1fc, v232, v10
                                        ; implicit-def: $vgpr84_vgpr85
	s_delay_alu instid0(VALU_DEP_4) | instskip(NEXT) | instid1(VALU_DEP_4)
	v_and_or_b32 v2, 0x3fc, v2, v10
	v_and_or_b32 v3, 0x7fc, v3, v10
	s_delay_alu instid0(VALU_DEP_4) | instskip(NEXT) | instid1(VALU_DEP_4)
	v_lshl_add_u32 v254, v4, 4, v13
	v_lshl_add_u32 v253, v5, 4, v13
	s_delay_alu instid0(VALU_DEP_4) | instskip(NEXT) | instid1(VALU_DEP_4)
	v_lshl_add_u32 v250, v2, 4, v13
	v_lshl_add_u32 v249, v3, 4, v13
	ds_store_b128 v254, v[52:55]
	ds_store_b128 v254, v[68:71] offset:32
	ds_store_b128 v253, v[88:91]
	ds_store_b128 v253, v[72:75] offset:32
	;; [unrolled: 2-line block ×6, first 2 shown]
	global_wb scope:SCOPE_SE
	s_wait_dscnt 0x0
	s_barrier_signal -1
	s_barrier_wait -1
	global_inv scope:SCOPE_SE
	s_and_saveexec_b32 s0, vcc_lo
	s_cbranch_execz .LBB0_3
; %bb.2:
	ds_load_b128 v[52:55], v12
	ds_load_b128 v[68:71], v12 offset:1152
	ds_load_b128 v[88:91], v12 offset:2304
	ds_load_b128 v[72:75], v12 offset:3456
	ds_load_b128 v[104:107], v12 offset:4608
	ds_load_b128 v[64:67], v12 offset:5760
	ds_load_b128 v[80:83], v12 offset:6912
	ds_load_b128 v[60:63], v12 offset:8064
	ds_load_b128 v[116:119], v12 offset:9216
	ds_load_b128 v[76:79], v12 offset:10368
	ds_load_b128 v[100:103], v12 offset:11520
	ds_load_b128 v[92:95], v12 offset:12672
	ds_load_b128 v[84:87], v12 offset:13824
.LBB0_3:
	s_wait_alu 0xfffe
	s_or_b32 exec_lo, exec_lo, s0
	v_and_b32_e32 v0, 3, v255
	s_mov_b32 s14, 0x4267c47c
	s_mov_b32 s15, 0xbfddbe06
	;; [unrolled: 1-line block ×4, first 2 shown]
	v_mul_u32_u24_e32 v0, 12, v0
	s_mov_b32 s18, 0x42a4c3d2
	s_mov_b32 s19, 0xbfea55e2
	;; [unrolled: 1-line block ×4, first 2 shown]
	v_lshlrev_b32_e32 v4, 4, v0
	s_mov_b32 s20, 0x66966769
	s_mov_b32 s21, 0xbfefc445
	;; [unrolled: 1-line block ×4, first 2 shown]
	s_clause 0x1
	global_load_b128 v[48:51], v4, s[10:11] offset:32
	global_load_b128 v[112:115], v4, s[10:11] offset:96
	s_mov_b32 s28, 0x2ef20147
	s_mov_b32 s29, 0xbfedeba7
	;; [unrolled: 1-line block ×12, first 2 shown]
	s_clause 0x2
	global_load_b128 v[148:151], v4, s[10:11] offset:112
	global_load_b128 v[152:155], v4, s[10:11] offset:128
	global_load_b128 v[120:123], v4, s[10:11] offset:144
	s_wait_loadcnt_dscnt 0x40b
	v_mul_f64_e32 v[0:1], v[70:71], v[50:51]
	v_mul_f64_e32 v[2:3], v[68:69], v[50:51]
	s_delay_alu instid0(VALU_DEP_2) | instskip(NEXT) | instid1(VALU_DEP_2)
	v_fma_f64 v[0:1], v[68:69], v[48:49], -v[0:1]
	v_fma_f64 v[2:3], v[70:71], v[48:49], v[2:3]
	global_load_b128 v[68:71], v4, s[10:11] offset:208
	s_wait_loadcnt_dscnt 0x0
	v_mul_f64_e32 v[96:97], v[84:85], v[70:71]
	s_delay_alu instid0(VALU_DEP_1) | instskip(SKIP_1) | instid1(VALU_DEP_2)
	v_fma_f64 v[124:125], v[86:87], v[68:69], v[96:97]
	v_mul_f64_e32 v[86:87], v[86:87], v[70:71]
	v_add_f64_e64 v[218:219], v[2:3], -v[124:125]
	s_delay_alu instid0(VALU_DEP_2)
	v_fma_f64 v[126:127], v[84:85], v[68:69], -v[86:87]
	global_load_b128 v[84:87], v4, s[10:11] offset:48
	v_add_f64_e32 v[222:223], v[2:3], v[124:125]
	s_wait_alu 0xfffe
	v_mul_f64_e32 v[216:217], s[14:15], v[218:219]
	v_add_f64_e32 v[214:215], v[0:1], v[126:127]
	v_add_f64_e64 v[224:225], v[0:1], -v[126:127]
	s_delay_alu instid0(VALU_DEP_1) | instskip(SKIP_2) | instid1(VALU_DEP_1)
	v_mul_f64_e32 v[220:221], s[14:15], v[224:225]
	s_wait_loadcnt 0x0
	v_mul_f64_e32 v[96:97], v[90:91], v[86:87]
	v_fma_f64 v[132:133], v[88:89], v[84:85], -v[96:97]
	v_mul_f64_e32 v[88:89], v[88:89], v[86:87]
	s_delay_alu instid0(VALU_DEP_1) | instskip(SKIP_3) | instid1(VALU_DEP_1)
	v_fma_f64 v[134:135], v[90:91], v[84:85], v[88:89]
	global_load_b128 v[88:91], v4, s[10:11] offset:192
	s_wait_loadcnt 0x0
	v_mul_f64_e32 v[96:97], v[92:93], v[90:91]
	v_fma_f64 v[128:129], v[94:95], v[88:89], v[96:97]
	v_mul_f64_e32 v[94:95], v[94:95], v[90:91]
	s_delay_alu instid0(VALU_DEP_2) | instskip(NEXT) | instid1(VALU_DEP_2)
	v_add_f64_e64 v[174:175], v[134:135], -v[128:129]
	v_fma_f64 v[130:131], v[92:93], v[88:89], -v[94:95]
	global_load_b128 v[92:95], v4, s[10:11] offset:64
	v_add_f64_e64 v[164:165], v[132:133], -v[130:131]
	s_delay_alu instid0(VALU_DEP_1) | instskip(SKIP_2) | instid1(VALU_DEP_1)
	v_mul_f64_e32 v[6:7], s[18:19], v[164:165]
	s_wait_loadcnt 0x0
	v_mul_f64_e32 v[96:97], v[74:75], v[94:95]
	v_fma_f64 v[136:137], v[72:73], v[92:93], -v[96:97]
	global_load_b128 v[96:99], v4, s[10:11] offset:176
	v_mul_f64_e32 v[72:73], v[72:73], v[94:95]
	s_delay_alu instid0(VALU_DEP_1) | instskip(SKIP_3) | instid1(VALU_DEP_2)
	v_fma_f64 v[138:139], v[74:75], v[92:93], v[72:73]
	s_wait_loadcnt 0x0
	v_mul_f64_e32 v[72:73], v[102:103], v[98:99]
	v_mul_f64_e32 v[74:75], v[100:101], v[98:99]
	v_fma_f64 v[72:73], v[100:101], v[96:97], -v[72:73]
	s_delay_alu instid0(VALU_DEP_2) | instskip(SKIP_4) | instid1(VALU_DEP_3)
	v_fma_f64 v[74:75], v[102:103], v[96:97], v[74:75]
	global_load_b128 v[100:103], v4, s[10:11] offset:80
	v_add_f64_e64 v[176:177], v[136:137], -v[72:73]
	v_add_f64_e64 v[202:203], v[138:139], -v[74:75]
	v_add_f64_e32 v[170:171], v[138:139], v[74:75]
	v_mul_f64_e32 v[16:17], s[20:21], v[176:177]
	s_delay_alu instid0(VALU_DEP_3) | instskip(SKIP_2) | instid1(VALU_DEP_1)
	v_mul_f64_e32 v[8:9], s[20:21], v[202:203]
	s_wait_loadcnt 0x0
	v_mul_f64_e32 v[108:109], v[106:107], v[102:103]
	v_fma_f64 v[140:141], v[104:105], v[100:101], -v[108:109]
	global_load_b128 v[108:111], v4, s[10:11] offset:160
	v_mul_f64_e32 v[104:105], v[104:105], v[102:103]
	v_mul_f64_e32 v[4:5], s[18:19], v[174:175]
	global_wb scope:SCOPE_SE
	s_wait_loadcnt 0x0
	s_barrier_signal -1
	s_barrier_wait -1
	global_inv scope:SCOPE_SE
	v_fma_f64 v[106:107], v[106:107], v[100:101], v[104:105]
	v_mul_f64_e32 v[104:105], v[78:79], v[110:111]
	s_delay_alu instid0(VALU_DEP_1) | instskip(SKIP_1) | instid1(VALU_DEP_2)
	v_fma_f64 v[104:105], v[76:77], v[108:109], -v[104:105]
	v_mul_f64_e32 v[76:77], v[76:77], v[110:111]
	v_add_f64_e64 v[200:201], v[140:141], -v[104:105]
	s_delay_alu instid0(VALU_DEP_2) | instskip(SKIP_1) | instid1(VALU_DEP_3)
	v_fma_f64 v[76:77], v[78:79], v[108:109], v[76:77]
	v_mul_f64_e32 v[78:79], v[66:67], v[114:115]
	v_mul_f64_e32 v[184:185], s[28:29], v[200:201]
	s_delay_alu instid0(VALU_DEP_3) | instskip(NEXT) | instid1(VALU_DEP_3)
	v_add_f64_e64 v[208:209], v[106:107], -v[76:77]
	v_fma_f64 v[78:79], v[64:65], v[112:113], -v[78:79]
	v_mul_f64_e32 v[64:65], v[64:65], v[114:115]
	v_add_f64_e32 v[182:183], v[106:107], v[76:77]
	s_delay_alu instid0(VALU_DEP_4) | instskip(NEXT) | instid1(VALU_DEP_3)
	v_mul_f64_e32 v[10:11], s[28:29], v[208:209]
	v_fma_f64 v[142:143], v[66:67], v[112:113], v[64:65]
	v_mul_f64_e32 v[64:65], v[118:119], v[122:123]
	v_mul_f64_e32 v[66:67], v[116:117], v[122:123]
	s_delay_alu instid0(VALU_DEP_2) | instskip(SKIP_1) | instid1(VALU_DEP_3)
	v_fma_f64 v[64:65], v[116:117], v[120:121], -v[64:65]
	v_mul_f64_e32 v[116:117], v[82:83], v[150:151]
	v_fma_f64 v[66:67], v[118:119], v[120:121], v[66:67]
	s_delay_alu instid0(VALU_DEP_3) | instskip(NEXT) | instid1(VALU_DEP_3)
	v_add_f64_e64 v[204:205], v[78:79], -v[64:65]
	v_fma_f64 v[116:117], v[80:81], v[148:149], -v[116:117]
	v_mul_f64_e32 v[80:81], v[80:81], v[150:151]
	s_delay_alu instid0(VALU_DEP_4) | instskip(SKIP_2) | instid1(VALU_DEP_4)
	v_add_f64_e64 v[210:211], v[142:143], -v[66:67]
	v_add_f64_e32 v[190:191], v[142:143], v[66:67]
	v_mul_f64_e32 v[194:195], s[30:31], v[204:205]
	v_fma_f64 v[80:81], v[82:83], v[148:149], v[80:81]
	v_mul_f64_e32 v[82:83], v[62:63], v[154:155]
	v_mul_f64_e32 v[180:181], s[30:31], v[210:211]
	s_delay_alu instid0(VALU_DEP_2) | instskip(SKIP_1) | instid1(VALU_DEP_2)
	v_fma_f64 v[82:83], v[60:61], v[152:153], -v[82:83]
	v_mul_f64_e32 v[60:61], v[60:61], v[154:155]
	v_add_f64_e64 v[206:207], v[116:117], -v[82:83]
	s_delay_alu instid0(VALU_DEP_2) | instskip(SKIP_1) | instid1(VALU_DEP_3)
	v_fma_f64 v[60:61], v[62:63], v[152:153], v[60:61]
	v_fma_f64 v[62:63], v[214:215], s[12:13], v[216:217]
	v_mul_f64_e32 v[198:199], s[34:35], v[206:207]
	s_delay_alu instid0(VALU_DEP_3) | instskip(NEXT) | instid1(VALU_DEP_3)
	v_add_f64_e64 v[212:213], v[80:81], -v[60:61]
	v_add_f64_e32 v[144:145], v[52:53], v[62:63]
	v_add_f64_e32 v[62:63], v[132:133], v[130:131]
	s_delay_alu instid0(VALU_DEP_3) | instskip(NEXT) | instid1(VALU_DEP_2)
	v_mul_f64_e32 v[188:189], s[34:35], v[212:213]
	v_fma_f64 v[146:147], v[62:63], s[0:1], v[4:5]
	s_delay_alu instid0(VALU_DEP_1) | instskip(SKIP_1) | instid1(VALU_DEP_1)
	v_add_f64_e32 v[160:161], v[146:147], v[144:145]
	v_fma_f64 v[144:145], v[222:223], s[12:13], -v[220:221]
	v_add_f64_e32 v[156:157], v[54:55], v[144:145]
	v_add_f64_e32 v[144:145], v[134:135], v[128:129]
	s_delay_alu instid0(VALU_DEP_1) | instskip(NEXT) | instid1(VALU_DEP_1)
	v_fma_f64 v[158:159], v[144:145], s[0:1], -v[6:7]
	v_add_f64_e32 v[162:163], v[158:159], v[156:157]
	v_add_f64_e32 v[156:157], v[136:137], v[72:73]
	s_delay_alu instid0(VALU_DEP_1) | instskip(NEXT) | instid1(VALU_DEP_1)
	v_fma_f64 v[166:167], v[156:157], s[16:17], v[8:9]
	v_add_f64_e32 v[160:161], v[166:167], v[160:161]
	v_fma_f64 v[166:167], v[170:171], s[16:17], -v[16:17]
	s_delay_alu instid0(VALU_DEP_1) | instskip(SKIP_1) | instid1(VALU_DEP_1)
	v_add_f64_e32 v[162:163], v[166:167], v[162:163]
	v_add_f64_e32 v[166:167], v[140:141], v[104:105]
	v_fma_f64 v[178:179], v[166:167], s[22:23], v[10:11]
	s_delay_alu instid0(VALU_DEP_1) | instskip(SKIP_1) | instid1(VALU_DEP_1)
	v_add_f64_e32 v[160:161], v[178:179], v[160:161]
	v_fma_f64 v[178:179], v[182:183], s[22:23], -v[184:185]
	v_add_f64_e32 v[162:163], v[178:179], v[162:163]
	v_add_f64_e32 v[178:179], v[78:79], v[64:65]
	s_delay_alu instid0(VALU_DEP_1) | instskip(NEXT) | instid1(VALU_DEP_1)
	v_fma_f64 v[186:187], v[178:179], s[24:25], v[180:181]
	v_add_f64_e32 v[160:161], v[186:187], v[160:161]
	v_fma_f64 v[186:187], v[190:191], s[24:25], -v[194:195]
	s_delay_alu instid0(VALU_DEP_1) | instskip(SKIP_1) | instid1(VALU_DEP_1)
	v_add_f64_e32 v[162:163], v[186:187], v[162:163]
	v_add_f64_e32 v[186:187], v[116:117], v[82:83]
	v_fma_f64 v[196:197], v[186:187], s[26:27], v[188:189]
	s_delay_alu instid0(VALU_DEP_1) | instskip(SKIP_1) | instid1(VALU_DEP_1)
	v_add_f64_e32 v[160:161], v[196:197], v[160:161]
	v_add_f64_e32 v[196:197], v[80:81], v[60:61]
	v_fma_f64 v[237:238], v[196:197], s[26:27], -v[198:199]
	s_delay_alu instid0(VALU_DEP_1)
	v_add_f64_e32 v[162:163], v[237:238], v[162:163]
	s_and_saveexec_b32 s33, vcc_lo
	s_cbranch_execz .LBB0_5
; %bb.4:
	s_clause 0x5
	scratch_store_b32 off, v249, off offset:200
	scratch_store_b32 off, v250, off offset:204
	;; [unrolled: 1-line block ×6, first 2 shown]
	v_mul_f64_e32 v[253:254], s[0:1], v[222:223]
	v_add_f64_e32 v[2:3], v[54:55], v[2:3]
	s_mov_b32 s43, 0x3fea55e2
	s_mov_b32 s42, s18
	v_mul_f64_e32 v[237:238], s[26:27], v[222:223]
	v_mul_f64_e32 v[241:242], s[24:25], v[222:223]
	;; [unrolled: 1-line block ×5, first 2 shown]
	v_add_f64_e32 v[0:1], v[52:53], v[0:1]
	s_mov_b32 s37, 0x3fedeba7
	s_mov_b32 s36, s28
	;; [unrolled: 1-line block ×8, first 2 shown]
	scratch_store_b64 off, v[6:7], off offset:264 ; 8-byte Folded Spill
	v_mul_f64_e32 v[6:7], s[28:29], v[218:219]
	scratch_store_b64 off, v[8:9], off offset:256 ; 8-byte Folded Spill
	v_mul_f64_e32 v[8:9], s[20:21], v[218:219]
	v_mov_b32_e32 v14, v229
	s_mov_b32 s47, 0x3fddbe06
	s_mov_b32 s46, s14
	v_mul_f64_e32 v[24:25], s[42:43], v[208:209]
	v_mul_f64_e32 v[20:21], s[0:1], v[182:183]
	;; [unrolled: 1-line block ×7, first 2 shown]
	v_dual_mov_b32 v172, v192 :: v_dual_mov_b32 v173, v193
	v_mul_f64_e32 v[146:147], s[26:27], v[190:191]
	scratch_store_b64 off, v[10:11], off offset:248 ; 8-byte Folded Spill
	v_mul_f64_e32 v[158:159], s[38:39], v[210:211]
	v_mul_f64_e32 v[168:169], s[0:1], v[196:197]
	s_clause 0x1
	scratch_store_b64 off, v[2:3], off offset:224
	scratch_store_b64 off, v[4:5], off offset:240
	v_fma_f64 v[4:5], v[224:225], s[42:43], v[253:254]
	v_fma_f64 v[239:240], v[224:225], s[38:39], v[237:238]
	;; [unrolled: 1-line block ×10, first 2 shown]
	v_add_f64_e32 v[220:221], v[220:221], v[222:223]
	v_mul_f64_e32 v[222:223], s[34:35], v[218:219]
	v_mul_f64_e32 v[253:254], s[30:31], v[218:219]
	;; [unrolled: 1-line block ×3, first 2 shown]
	scratch_store_b64 off, v[0:1], off offset:232 ; 8-byte Folded Spill
	v_fma_f64 v[228:229], v[214:215], s[22:23], v[6:7]
	v_fma_f64 v[6:7], v[214:215], s[22:23], -v[6:7]
	v_fma_f64 v[232:233], v[214:215], s[16:17], v[8:9]
	v_fma_f64 v[8:9], v[214:215], s[16:17], -v[8:9]
	v_fma_f64 v[26:27], v[166:167], s[0:1], v[24:25]
	v_fma_f64 v[22:23], v[200:201], s[18:19], v[20:21]
	v_fma_f64 v[30:31], v[178:179], s[22:23], v[28:29]
	v_fma_f64 v[20:21], v[200:201], s[42:43], v[20:21]
	v_fma_f64 v[34:35], v[178:179], s[16:17], -v[32:33]
	v_fma_f64 v[38:39], v[176:177], s[36:37], v[36:37]
	v_fma_f64 v[46:47], v[166:167], s[12:13], -v[44:45]
	v_add_f64_e32 v[0:1], v[54:55], v[4:5]
	v_mul_f64_e32 v[4:5], s[36:37], v[202:203]
	v_add_f64_e32 v[247:248], v[54:55], v[247:248]
	v_add_f64_e32 v[245:246], v[54:55], v[245:246]
	;; [unrolled: 1-line block ×3, first 2 shown]
	v_fma_f64 v[10:11], v[214:215], s[26:27], v[222:223]
	v_fma_f64 v[222:223], v[214:215], s[26:27], -v[222:223]
	v_fma_f64 v[226:227], v[214:215], s[24:25], v[253:254]
	v_fma_f64 v[253:254], v[214:215], s[24:25], -v[253:254]
	v_fma_f64 v[18:19], v[214:215], s[0:1], -v[218:219]
	v_add_f64_e32 v[228:229], v[52:53], v[228:229]
	v_add_f64_e32 v[6:7], v[52:53], v[6:7]
	;; [unrolled: 1-line block ×4, first 2 shown]
	scratch_store_b64 off, v[0:1], off offset:296 ; 8-byte Folded Spill
	v_add_f64_e32 v[0:1], v[54:55], v[220:221]
	scratch_store_b64 off, v[16:17], off offset:272 ; 8-byte Folded Spill
	v_fma_f64 v[16:17], v[214:215], s[0:1], v[218:219]
	v_mul_f64_e32 v[214:215], s[12:13], v[214:215]
	v_add_f64_e32 v[218:219], v[54:55], v[237:238]
	v_add_f64_e32 v[237:238], v[54:55], v[243:244]
	;; [unrolled: 1-line block ×4, first 2 shown]
	v_mul_f64_e32 v[220:221], s[24:25], v[170:171]
	v_mul_f64_e32 v[224:225], s[30:31], v[202:203]
	v_add_f64_e32 v[10:11], v[52:53], v[10:11]
	v_add_f64_e32 v[222:223], v[52:53], v[222:223]
	;; [unrolled: 1-line block ×3, first 2 shown]
	v_fma_f64 v[42:43], v[156:157], s[22:23], -v[4:5]
	v_add_f64_e32 v[18:19], v[52:53], v[18:19]
	scratch_store_b64 off, v[0:1], off offset:280 ; 8-byte Folded Spill
	v_add_f64_e32 v[16:17], v[52:53], v[16:17]
	v_add_f64_e64 v[214:215], v[214:215], -v[216:217]
	v_add_f64_e32 v[216:217], v[54:55], v[239:240]
	v_add_f64_e32 v[239:240], v[54:55], v[241:242]
	;; [unrolled: 1-line block ×3, first 2 shown]
	s_delay_alu instid0(VALU_DEP_4) | instskip(SKIP_4) | instid1(VALU_DEP_2)
	v_add_f64_e32 v[0:1], v[52:53], v[214:215]
	v_mul_f64_e32 v[214:215], s[12:13], v[144:145]
	scratch_store_b64 off, v[0:1], off offset:288 ; 8-byte Folded Spill
	v_fma_f64 v[52:53], v[164:165], s[14:15], v[214:215]
	v_mul_f64_e32 v[0:1], s[18:19], v[210:211]
	v_add_f64_e32 v[52:53], v[52:53], v[216:217]
	v_mul_f64_e32 v[216:217], s[46:47], v[174:175]
	s_delay_alu instid0(VALU_DEP_1) | instskip(NEXT) | instid1(VALU_DEP_1)
	v_fma_f64 v[54:55], v[62:63], s[12:13], v[216:217]
	v_add_f64_e32 v[10:11], v[54:55], v[10:11]
	v_fma_f64 v[54:55], v[176:177], s[40:41], v[220:221]
	s_delay_alu instid0(VALU_DEP_1) | instskip(SKIP_1) | instid1(VALU_DEP_2)
	v_add_f64_e32 v[52:53], v[54:55], v[52:53]
	v_fma_f64 v[54:55], v[156:157], s[24:25], v[224:225]
	v_add_f64_e32 v[22:23], v[22:23], v[52:53]
	s_delay_alu instid0(VALU_DEP_2) | instskip(NEXT) | instid1(VALU_DEP_1)
	v_add_f64_e32 v[10:11], v[54:55], v[10:11]
	v_add_f64_e32 v[10:11], v[26:27], v[10:11]
	v_mul_f64_e32 v[26:27], s[22:23], v[190:191]
	s_delay_alu instid0(VALU_DEP_2) | instskip(NEXT) | instid1(VALU_DEP_2)
	v_add_f64_e32 v[10:11], v[30:31], v[10:11]
	v_fma_f64 v[52:53], v[204:205], s[36:37], v[26:27]
	v_mul_f64_e32 v[30:31], s[16:17], v[196:197]
	s_delay_alu instid0(VALU_DEP_2) | instskip(NEXT) | instid1(VALU_DEP_2)
	v_add_f64_e32 v[22:23], v[52:53], v[22:23]
	v_fma_f64 v[52:53], v[206:207], s[20:21], v[30:31]
	s_delay_alu instid0(VALU_DEP_1) | instskip(SKIP_1) | instid1(VALU_DEP_1)
	v_add_f64_e32 v[54:55], v[52:53], v[22:23]
	v_mul_f64_e32 v[22:23], s[44:45], v[212:213]
	v_fma_f64 v[52:53], v[186:187], s[16:17], v[22:23]
	v_fma_f64 v[22:23], v[186:187], s[16:17], -v[22:23]
	s_delay_alu instid0(VALU_DEP_2) | instskip(SKIP_3) | instid1(VALU_DEP_3)
	v_add_f64_e32 v[52:53], v[52:53], v[10:11]
	v_fma_f64 v[10:11], v[164:165], s[46:47], v[214:215]
	v_fma_f64 v[214:215], v[62:63], s[12:13], -v[216:217]
	v_fma_f64 v[216:217], v[176:177], s[30:31], v[220:221]
	v_add_f64_e32 v[10:11], v[10:11], v[218:219]
	s_delay_alu instid0(VALU_DEP_3) | instskip(SKIP_1) | instid1(VALU_DEP_3)
	v_add_f64_e32 v[214:215], v[214:215], v[222:223]
	v_mul_f64_e32 v[222:223], s[38:39], v[208:209]
	v_add_f64_e32 v[10:11], v[216:217], v[10:11]
	v_fma_f64 v[216:217], v[156:157], s[24:25], -v[224:225]
	v_mul_f64_e32 v[224:225], s[12:13], v[190:191]
	s_delay_alu instid0(VALU_DEP_3) | instskip(NEXT) | instid1(VALU_DEP_3)
	v_add_f64_e32 v[10:11], v[20:21], v[10:11]
	v_add_f64_e32 v[214:215], v[216:217], v[214:215]
	v_fma_f64 v[20:21], v[166:167], s[0:1], -v[24:25]
	v_fma_f64 v[24:25], v[204:205], s[28:29], v[26:27]
	v_mul_f64_e32 v[26:27], s[0:1], v[170:171]
	s_delay_alu instid0(VALU_DEP_3) | instskip(NEXT) | instid1(VALU_DEP_3)
	v_add_f64_e32 v[20:21], v[20:21], v[214:215]
	v_add_f64_e32 v[10:11], v[24:25], v[10:11]
	v_fma_f64 v[24:25], v[178:179], s[22:23], -v[28:29]
	s_delay_alu instid0(VALU_DEP_4) | instskip(NEXT) | instid1(VALU_DEP_2)
	v_fma_f64 v[28:29], v[176:177], s[42:43], v[26:27]
	v_add_f64_e32 v[20:21], v[24:25], v[20:21]
	v_fma_f64 v[24:25], v[206:207], s[44:45], v[30:31]
	s_delay_alu instid0(VALU_DEP_2) | instskip(NEXT) | instid1(VALU_DEP_2)
	v_add_f64_e32 v[214:215], v[22:23], v[20:21]
	v_add_f64_e32 v[216:217], v[24:25], v[10:11]
	v_mul_f64_e32 v[10:11], s[16:17], v[144:145]
	v_mul_f64_e32 v[22:23], s[44:45], v[174:175]
	s_delay_alu instid0(VALU_DEP_2) | instskip(NEXT) | instid1(VALU_DEP_2)
	v_fma_f64 v[20:21], v[164:165], s[20:21], v[10:11]
	v_fma_f64 v[24:25], v[62:63], s[16:17], v[22:23]
	;; [unrolled: 1-line block ×3, first 2 shown]
	v_fma_f64 v[22:23], v[62:63], s[16:17], -v[22:23]
	s_delay_alu instid0(VALU_DEP_4) | instskip(NEXT) | instid1(VALU_DEP_4)
	v_add_f64_e32 v[20:21], v[20:21], v[237:238]
	v_add_f64_e32 v[24:25], v[24:25], v[226:227]
	v_mul_f64_e32 v[226:227], s[46:47], v[210:211]
	v_mul_f64_e32 v[237:238], s[22:23], v[196:197]
	v_add_f64_e32 v[10:11], v[10:11], v[239:240]
	v_add_f64_e32 v[22:23], v[22:23], v[241:242]
	v_add_f64_e32 v[20:21], v[28:29], v[20:21]
	v_mul_f64_e32 v[28:29], s[18:19], v[202:203]
	s_delay_alu instid0(VALU_DEP_1) | instskip(NEXT) | instid1(VALU_DEP_1)
	v_fma_f64 v[30:31], v[156:157], s[0:1], v[28:29]
	v_add_f64_e32 v[24:25], v[30:31], v[24:25]
	v_mul_f64_e32 v[30:31], s[26:27], v[182:183]
	s_delay_alu instid0(VALU_DEP_1) | instskip(NEXT) | instid1(VALU_DEP_1)
	v_fma_f64 v[218:219], v[200:201], s[34:35], v[30:31]
	v_add_f64_e32 v[20:21], v[218:219], v[20:21]
	v_fma_f64 v[218:219], v[166:167], s[26:27], v[222:223]
	s_delay_alu instid0(VALU_DEP_1) | instskip(SKIP_1) | instid1(VALU_DEP_1)
	v_add_f64_e32 v[24:25], v[218:219], v[24:25]
	v_fma_f64 v[218:219], v[204:205], s[14:15], v[224:225]
	v_add_f64_e32 v[20:21], v[218:219], v[20:21]
	v_fma_f64 v[218:219], v[178:179], s[12:13], v[226:227]
	s_delay_alu instid0(VALU_DEP_1) | instskip(SKIP_1) | instid1(VALU_DEP_1)
	v_add_f64_e32 v[24:25], v[218:219], v[24:25]
	v_fma_f64 v[218:219], v[206:207], s[36:37], v[237:238]
	v_add_f64_e32 v[220:221], v[218:219], v[20:21]
	v_mul_f64_e32 v[20:21], s[28:29], v[212:213]
	s_delay_alu instid0(VALU_DEP_1) | instskip(SKIP_1) | instid1(VALU_DEP_2)
	v_fma_f64 v[218:219], v[186:187], s[22:23], v[20:21]
	v_fma_f64 v[20:21], v[186:187], s[22:23], -v[20:21]
	v_add_f64_e32 v[218:219], v[218:219], v[24:25]
	v_fma_f64 v[24:25], v[176:177], s[18:19], v[26:27]
	s_delay_alu instid0(VALU_DEP_1) | instskip(SKIP_1) | instid1(VALU_DEP_1)
	v_add_f64_e32 v[10:11], v[24:25], v[10:11]
	v_fma_f64 v[24:25], v[156:157], s[0:1], -v[28:29]
	v_add_f64_e32 v[22:23], v[24:25], v[22:23]
	v_fma_f64 v[24:25], v[200:201], s[38:39], v[30:31]
	s_delay_alu instid0(VALU_DEP_1) | instskip(SKIP_1) | instid1(VALU_DEP_1)
	v_add_f64_e32 v[10:11], v[24:25], v[10:11]
	;; [unrolled: 5-line block ×3, first 2 shown]
	v_fma_f64 v[24:25], v[178:179], s[12:13], -v[226:227]
	v_add_f64_e32 v[22:23], v[24:25], v[22:23]
	v_fma_f64 v[24:25], v[206:207], s[28:29], v[237:238]
	s_delay_alu instid0(VALU_DEP_2) | instskip(SKIP_1) | instid1(VALU_DEP_3)
	v_add_f64_e32 v[222:223], v[20:21], v[22:23]
	v_mul_f64_e32 v[22:23], s[28:29], v[174:175]
	v_add_f64_e32 v[224:225], v[24:25], v[10:11]
	v_mul_f64_e32 v[10:11], s[22:23], v[144:145]
	s_delay_alu instid0(VALU_DEP_3) | instskip(NEXT) | instid1(VALU_DEP_2)
	v_fma_f64 v[24:25], v[62:63], s[22:23], -v[22:23]
	v_fma_f64 v[20:21], v[164:165], s[28:29], v[10:11]
	s_delay_alu instid0(VALU_DEP_2) | instskip(SKIP_1) | instid1(VALU_DEP_3)
	v_add_f64_e32 v[18:19], v[24:25], v[18:19]
	v_mul_f64_e32 v[24:25], s[26:27], v[170:171]
	v_add_f64_e32 v[20:21], v[20:21], v[249:250]
	v_mul_f64_e32 v[249:250], s[34:35], v[174:175]
	v_mul_f64_e32 v[174:175], s[40:41], v[174:175]
	s_delay_alu instid0(VALU_DEP_4) | instskip(NEXT) | instid1(VALU_DEP_1)
	v_fma_f64 v[26:27], v[176:177], s[34:35], v[24:25]
	v_add_f64_e32 v[20:21], v[26:27], v[20:21]
	v_mul_f64_e32 v[26:27], s[34:35], v[202:203]
	v_mul_f64_e32 v[202:203], s[46:47], v[202:203]
	s_delay_alu instid0(VALU_DEP_2) | instskip(NEXT) | instid1(VALU_DEP_1)
	v_fma_f64 v[28:29], v[156:157], s[26:27], -v[26:27]
	v_add_f64_e32 v[18:19], v[28:29], v[18:19]
	v_mul_f64_e32 v[28:29], s[24:25], v[182:183]
	s_delay_alu instid0(VALU_DEP_1) | instskip(NEXT) | instid1(VALU_DEP_1)
	v_fma_f64 v[30:31], v[200:201], s[40:41], v[28:29]
	v_add_f64_e32 v[20:21], v[30:31], v[20:21]
	v_mul_f64_e32 v[30:31], s[40:41], v[208:209]
	s_delay_alu instid0(VALU_DEP_1) | instskip(NEXT) | instid1(VALU_DEP_1)
	v_fma_f64 v[226:227], v[166:167], s[24:25], -v[30:31]
	v_add_f64_e32 v[18:19], v[226:227], v[18:19]
	v_mul_f64_e32 v[226:227], s[16:17], v[190:191]
	s_delay_alu instid0(VALU_DEP_2) | instskip(NEXT) | instid1(VALU_DEP_2)
	v_add_f64_e32 v[18:19], v[34:35], v[18:19]
	v_fma_f64 v[237:238], v[204:205], s[44:45], v[226:227]
	v_mul_f64_e32 v[34:35], s[12:13], v[196:197]
	s_delay_alu instid0(VALU_DEP_2) | instskip(NEXT) | instid1(VALU_DEP_2)
	v_add_f64_e32 v[20:21], v[237:238], v[20:21]
	v_fma_f64 v[237:238], v[206:207], s[46:47], v[34:35]
	s_delay_alu instid0(VALU_DEP_1) | instskip(SKIP_1) | instid1(VALU_DEP_1)
	v_add_f64_e32 v[239:240], v[237:238], v[20:21]
	v_mul_f64_e32 v[20:21], s[46:47], v[212:213]
	v_fma_f64 v[237:238], v[186:187], s[12:13], -v[20:21]
	s_delay_alu instid0(VALU_DEP_1) | instskip(SKIP_1) | instid1(VALU_DEP_1)
	v_add_f64_e32 v[237:238], v[237:238], v[18:19]
	v_mul_f64_e32 v[18:19], s[26:27], v[144:145]
	v_fma_f64 v[241:242], v[164:165], s[34:35], v[18:19]
	s_delay_alu instid0(VALU_DEP_1) | instskip(SKIP_1) | instid1(VALU_DEP_2)
	v_add_f64_e32 v[241:242], v[241:242], v[243:244]
	v_fma_f64 v[243:244], v[62:63], s[26:27], -v[249:250]
	v_add_f64_e32 v[38:39], v[38:39], v[241:242]
	s_delay_alu instid0(VALU_DEP_2) | instskip(NEXT) | instid1(VALU_DEP_1)
	v_add_f64_e32 v[8:9], v[243:244], v[8:9]
	v_add_f64_e32 v[8:9], v[42:43], v[8:9]
	v_mul_f64_e32 v[42:43], s[12:13], v[182:183]
	s_delay_alu instid0(VALU_DEP_2) | instskip(NEXT) | instid1(VALU_DEP_2)
	v_add_f64_e32 v[8:9], v[46:47], v[8:9]
	v_fma_f64 v[241:242], v[200:201], s[46:47], v[42:43]
	v_mul_f64_e32 v[46:47], s[0:1], v[190:191]
	s_delay_alu instid0(VALU_DEP_2) | instskip(NEXT) | instid1(VALU_DEP_2)
	v_add_f64_e32 v[38:39], v[241:242], v[38:39]
	v_fma_f64 v[241:242], v[204:205], s[18:19], v[46:47]
	s_delay_alu instid0(VALU_DEP_1) | instskip(SKIP_2) | instid1(VALU_DEP_2)
	v_add_f64_e32 v[38:39], v[241:242], v[38:39]
	v_fma_f64 v[241:242], v[178:179], s[0:1], -v[0:1]
	v_fma_f64 v[0:1], v[178:179], s[0:1], v[0:1]
	v_add_f64_e32 v[8:9], v[241:242], v[8:9]
	v_fma_f64 v[241:242], v[206:207], s[30:31], v[118:119]
	s_delay_alu instid0(VALU_DEP_1) | instskip(SKIP_2) | instid1(VALU_DEP_2)
	v_add_f64_e32 v[243:244], v[241:242], v[38:39]
	v_mul_f64_e32 v[38:39], s[30:31], v[212:213]
	v_mul_f64_e32 v[212:213], s[42:43], v[212:213]
	v_fma_f64 v[241:242], v[186:187], s[24:25], -v[38:39]
	s_delay_alu instid0(VALU_DEP_1) | instskip(SKIP_1) | instid1(VALU_DEP_1)
	v_add_f64_e32 v[241:242], v[241:242], v[8:9]
	v_mul_f64_e32 v[8:9], s[24:25], v[144:145]
	v_fma_f64 v[2:3], v[164:165], s[40:41], v[8:9]
	s_delay_alu instid0(VALU_DEP_1) | instskip(SKIP_1) | instid1(VALU_DEP_1)
	v_add_f64_e32 v[2:3], v[2:3], v[245:246]
	v_fma_f64 v[245:246], v[62:63], s[24:25], -v[174:175]
	v_add_f64_e32 v[6:7], v[245:246], v[6:7]
	v_mul_f64_e32 v[245:246], s[12:13], v[170:171]
	s_delay_alu instid0(VALU_DEP_1) | instskip(NEXT) | instid1(VALU_DEP_1)
	v_fma_f64 v[253:254], v[176:177], s[46:47], v[245:246]
	v_add_f64_e32 v[2:3], v[253:254], v[2:3]
	v_fma_f64 v[253:254], v[156:157], s[12:13], -v[202:203]
	s_delay_alu instid0(VALU_DEP_1) | instskip(SKIP_1) | instid1(VALU_DEP_1)
	v_add_f64_e32 v[6:7], v[253:254], v[6:7]
	v_mul_f64_e32 v[253:254], s[16:17], v[182:183]
	v_fma_f64 v[192:193], v[200:201], s[20:21], v[253:254]
	s_delay_alu instid0(VALU_DEP_1) | instskip(SKIP_1) | instid1(VALU_DEP_1)
	v_add_f64_e32 v[2:3], v[192:193], v[2:3]
	v_mul_f64_e32 v[192:193], s[20:21], v[208:209]
	v_fma_f64 v[208:209], v[166:167], s[16:17], -v[192:193]
	s_delay_alu instid0(VALU_DEP_1) | instskip(SKIP_1) | instid1(VALU_DEP_1)
	v_add_f64_e32 v[6:7], v[208:209], v[6:7]
	v_fma_f64 v[208:209], v[204:205], s[38:39], v[146:147]
	v_add_f64_e32 v[2:3], v[208:209], v[2:3]
	v_fma_f64 v[208:209], v[178:179], s[26:27], -v[158:159]
	s_delay_alu instid0(VALU_DEP_1) | instskip(SKIP_1) | instid1(VALU_DEP_1)
	v_add_f64_e32 v[6:7], v[208:209], v[6:7]
	v_fma_f64 v[208:209], v[206:207], s[42:43], v[168:169]
	v_add_f64_e32 v[210:211], v[208:209], v[2:3]
	v_fma_f64 v[2:3], v[186:187], s[0:1], -v[212:213]
	s_delay_alu instid0(VALU_DEP_1) | instskip(SKIP_3) | instid1(VALU_DEP_3)
	v_add_f64_e32 v[208:209], v[2:3], v[6:7]
	v_fma_f64 v[2:3], v[164:165], s[30:31], v[8:9]
	v_fma_f64 v[6:7], v[62:63], s[24:25], v[174:175]
	;; [unrolled: 1-line block ×3, first 2 shown]
	v_add_f64_e32 v[2:3], v[2:3], v[247:248]
	s_delay_alu instid0(VALU_DEP_3) | instskip(SKIP_2) | instid1(VALU_DEP_4)
	v_add_f64_e32 v[6:7], v[6:7], v[228:229]
	v_mov_b32_e32 v229, v14
	v_lshl_add_u32 v228, v230, 5, v13
	v_add_f64_e32 v[2:3], v[8:9], v[2:3]
	v_fma_f64 v[8:9], v[156:157], s[12:13], v[202:203]
	s_delay_alu instid0(VALU_DEP_1)
	v_add_f64_e32 v[6:7], v[8:9], v[6:7]
	v_fma_f64 v[8:9], v[200:201], s[44:45], v[253:254]
	s_clause 0x1
	scratch_load_b32 v254, off, off offset:220
	scratch_load_b32 v253, off, off offset:216
	v_add_f64_e32 v[2:3], v[8:9], v[2:3]
	v_fma_f64 v[8:9], v[166:167], s[16:17], v[192:193]
	v_dual_mov_b32 v193, v173 :: v_dual_mov_b32 v192, v172
	s_delay_alu instid0(VALU_DEP_2) | instskip(SKIP_2) | instid1(VALU_DEP_2)
	v_add_f64_e32 v[6:7], v[8:9], v[6:7]
	v_fma_f64 v[8:9], v[204:205], s[34:35], v[146:147]
	v_fma_f64 v[146:147], v[186:187], s[0:1], v[212:213]
	v_add_f64_e32 v[2:3], v[8:9], v[2:3]
	v_fma_f64 v[8:9], v[178:179], s[26:27], v[158:159]
	s_delay_alu instid0(VALU_DEP_1) | instskip(SKIP_1) | instid1(VALU_DEP_2)
	v_add_f64_e32 v[6:7], v[8:9], v[6:7]
	v_fma_f64 v[8:9], v[206:207], s[18:19], v[168:169]
	v_add_f64_e32 v[245:246], v[146:147], v[6:7]
	s_delay_alu instid0(VALU_DEP_2) | instskip(SKIP_3) | instid1(VALU_DEP_3)
	v_add_f64_e32 v[247:248], v[8:9], v[2:3]
	v_fma_f64 v[2:3], v[164:165], s[38:39], v[18:19]
	v_fma_f64 v[8:9], v[176:177], s[28:29], v[36:37]
	;; [unrolled: 1-line block ×3, first 2 shown]
	v_add_f64_e32 v[2:3], v[2:3], v[251:252]
	s_delay_alu instid0(VALU_DEP_2) | instskip(SKIP_1) | instid1(VALU_DEP_3)
	v_add_f64_e32 v[6:7], v[6:7], v[232:233]
	v_lshlrev_b32_e32 v232, 1, v15
	v_add_f64_e32 v[2:3], v[8:9], v[2:3]
	v_fma_f64 v[8:9], v[156:157], s[22:23], v[4:5]
	scratch_load_b64 v[4:5], off, off offset:296 th:TH_LOAD_LU ; 8-byte Folded Reload
	v_add_f64_e32 v[6:7], v[8:9], v[6:7]
	v_fma_f64 v[8:9], v[200:201], s[14:15], v[42:43]
	s_delay_alu instid0(VALU_DEP_1) | instskip(SKIP_1) | instid1(VALU_DEP_1)
	v_add_f64_e32 v[2:3], v[8:9], v[2:3]
	v_fma_f64 v[8:9], v[166:167], s[12:13], v[44:45]
	v_add_f64_e32 v[6:7], v[8:9], v[6:7]
	v_fma_f64 v[8:9], v[204:205], s[42:43], v[46:47]
	s_delay_alu instid0(VALU_DEP_2) | instskip(NEXT) | instid1(VALU_DEP_2)
	v_add_f64_e32 v[0:1], v[0:1], v[6:7]
	v_add_f64_e32 v[2:3], v[8:9], v[2:3]
	v_fma_f64 v[8:9], v[186:187], s[24:25], v[38:39]
	v_fma_f64 v[6:7], v[206:207], s[40:41], v[118:119]
	s_delay_alu instid0(VALU_DEP_2) | instskip(SKIP_1) | instid1(VALU_DEP_3)
	v_add_f64_e32 v[249:250], v[8:9], v[0:1]
	v_fma_f64 v[0:1], v[164:165], s[36:37], v[10:11]
	v_add_f64_e32 v[251:252], v[6:7], v[2:3]
	v_fma_f64 v[2:3], v[176:177], s[38:39], v[24:25]
	v_fma_f64 v[6:7], v[200:201], s[30:31], v[28:29]
	v_mul_f64_e32 v[10:11], s[22:23], v[166:167]
	scratch_load_b64 v[8:9], off, off offset:256 th:TH_LOAD_LU ; 8-byte Folded Reload
	s_wait_loadcnt 0x1
	v_add_f64_e32 v[0:1], v[0:1], v[4:5]
	v_fma_f64 v[4:5], v[62:63], s[22:23], v[22:23]
	s_delay_alu instid0(VALU_DEP_2) | instskip(NEXT) | instid1(VALU_DEP_2)
	v_add_f64_e32 v[0:1], v[2:3], v[0:1]
	v_add_f64_e32 v[4:5], v[4:5], v[16:17]
	scratch_load_b64 v[16:17], off, off offset:248 th:TH_LOAD_LU ; 8-byte Folded Reload
	v_fma_f64 v[2:3], v[156:157], s[26:27], v[26:27]
	v_add_f64_e32 v[0:1], v[6:7], v[0:1]
	v_fma_f64 v[6:7], v[166:167], s[24:25], v[30:31]
	s_delay_alu instid0(VALU_DEP_3) | instskip(SKIP_3) | instid1(VALU_DEP_4)
	v_add_f64_e32 v[2:3], v[2:3], v[4:5]
	v_fma_f64 v[4:5], v[204:205], s[20:21], v[226:227]
	v_lshl_add_u32 v227, v234, 5, v13
	v_lshl_add_u32 v226, v235, 5, v13
	v_add_f64_e32 v[2:3], v[6:7], v[2:3]
	s_delay_alu instid0(VALU_DEP_4) | instskip(SKIP_2) | instid1(VALU_DEP_2)
	v_add_f64_e32 v[0:1], v[4:5], v[0:1]
	v_fma_f64 v[4:5], v[178:179], s[16:17], v[32:33]
	v_fma_f64 v[6:7], v[206:207], s[14:15], v[34:35]
	v_add_f64_e32 v[2:3], v[4:5], v[2:3]
	v_fma_f64 v[4:5], v[186:187], s[12:13], v[20:21]
	s_delay_alu instid0(VALU_DEP_3)
	v_add_f64_e32 v[176:177], v[6:7], v[0:1]
	scratch_load_b64 v[6:7], off, off offset:240 th:TH_LOAD_LU ; 8-byte Folded Reload
	v_mul_f64_e32 v[0:1], s[16:17], v[170:171]
	v_add_f64_e32 v[174:175], v[4:5], v[2:3]
	s_clause 0x1
	scratch_load_b64 v[2:3], off, off offset:272 th:TH_LOAD_LU
	scratch_load_b64 v[4:5], off, off offset:264 th:TH_LOAD_LU
	s_wait_loadcnt 0x3
	v_add_f64_e64 v[10:11], v[10:11], -v[16:17]
	s_wait_loadcnt 0x1
	v_add_f64_e32 v[0:1], v[2:3], v[0:1]
	v_mul_f64_e32 v[2:3], s[0:1], v[144:145]
	s_wait_loadcnt 0x0
	s_delay_alu instid0(VALU_DEP_1) | instskip(SKIP_1) | instid1(VALU_DEP_1)
	v_add_f64_e32 v[2:3], v[4:5], v[2:3]
	v_mul_f64_e32 v[4:5], s[0:1], v[62:63]
	v_add_f64_e64 v[4:5], v[4:5], -v[6:7]
	v_mul_f64_e32 v[6:7], s[16:17], v[156:157]
	s_delay_alu instid0(VALU_DEP_1)
	v_add_f64_e64 v[6:7], v[6:7], -v[8:9]
	scratch_load_b64 v[8:9], off, off offset:280 th:TH_LOAD_LU ; 8-byte Folded Reload
	s_wait_loadcnt 0x0
	v_add_f64_e32 v[2:3], v[2:3], v[8:9]
	scratch_load_b64 v[8:9], off, off offset:288 th:TH_LOAD_LU ; 8-byte Folded Reload
	v_add_f64_e32 v[0:1], v[0:1], v[2:3]
	s_wait_loadcnt 0x0
	v_add_f64_e32 v[4:5], v[4:5], v[8:9]
	v_mul_f64_e32 v[8:9], s[22:23], v[182:183]
	s_delay_alu instid0(VALU_DEP_2) | instskip(NEXT) | instid1(VALU_DEP_2)
	v_add_f64_e32 v[2:3], v[6:7], v[4:5]
	v_add_f64_e32 v[8:9], v[184:185], v[8:9]
	v_mul_f64_e32 v[4:5], s[24:25], v[190:191]
	v_mul_f64_e32 v[6:7], s[24:25], v[178:179]
	s_delay_alu instid0(VALU_DEP_4) | instskip(NEXT) | instid1(VALU_DEP_4)
	v_add_f64_e32 v[2:3], v[10:11], v[2:3]
	v_add_f64_e32 v[0:1], v[8:9], v[0:1]
	s_delay_alu instid0(VALU_DEP_4) | instskip(NEXT) | instid1(VALU_DEP_4)
	v_add_f64_e32 v[4:5], v[194:195], v[4:5]
	v_add_f64_e64 v[6:7], v[6:7], -v[180:181]
	v_mul_f64_e32 v[8:9], s[26:27], v[196:197]
	v_mul_f64_e32 v[10:11], s[26:27], v[186:187]
	s_delay_alu instid0(VALU_DEP_4) | instskip(NEXT) | instid1(VALU_DEP_4)
	v_add_f64_e32 v[0:1], v[4:5], v[0:1]
	v_add_f64_e32 v[2:3], v[6:7], v[2:3]
	s_delay_alu instid0(VALU_DEP_4) | instskip(NEXT) | instid1(VALU_DEP_4)
	v_add_f64_e32 v[8:9], v[198:199], v[8:9]
	v_add_f64_e64 v[10:11], v[10:11], -v[188:189]
	s_delay_alu instid0(VALU_DEP_2) | instskip(NEXT) | instid1(VALU_DEP_2)
	v_add_f64_e32 v[146:147], v[8:9], v[0:1]
	v_add_f64_e32 v[144:145], v[10:11], v[2:3]
	s_clause 0x1
	scratch_load_b64 v[0:1], off, off offset:224 th:TH_LOAD_LU
	scratch_load_b64 v[2:3], off, off offset:232 th:TH_LOAD_LU
	s_wait_loadcnt 0x1
	v_add_f64_e32 v[0:1], v[0:1], v[134:135]
	s_wait_loadcnt 0x0
	v_add_f64_e32 v[2:3], v[2:3], v[132:133]
	s_delay_alu instid0(VALU_DEP_2) | instskip(NEXT) | instid1(VALU_DEP_2)
	v_add_f64_e32 v[0:1], v[0:1], v[138:139]
	v_add_f64_e32 v[2:3], v[2:3], v[136:137]
	s_delay_alu instid0(VALU_DEP_2) | instskip(NEXT) | instid1(VALU_DEP_2)
	v_add_f64_e32 v[0:1], v[0:1], v[106:107]
	;; [unrolled: 3-line block ×10, first 2 shown]
	v_add_f64_e32 v[0:1], v[4:5], v[126:127]
	v_lshrrev_b32_e32 v4, 2, v255
	v_and_b32_e32 v5, 3, v255
	s_delay_alu instid0(VALU_DEP_2) | instskip(NEXT) | instid1(VALU_DEP_1)
	v_mul_u32_u24_e32 v4, 52, v4
	v_or_b32_e32 v4, v4, v5
	s_delay_alu instid0(VALU_DEP_1)
	v_lshl_add_u32 v4, v4, 4, v13
	ds_store_b128 v4, v[237:240] offset:128
	ds_store_b128 v4, v[241:244] offset:192
	ds_store_b128 v4, v[208:211] offset:256
	ds_store_b128 v4, v[222:225] offset:320
	ds_store_b128 v4, v[214:217] offset:384
	ds_store_b128 v4, v[52:55] offset:448
	ds_store_b128 v4, v[218:221] offset:512
	ds_store_b128 v4, v[245:248] offset:576
	ds_store_b128 v4, v[249:252] offset:640
	s_clause 0x3
	scratch_load_b32 v252, off, off offset:212
	scratch_load_b32 v251, off, off offset:208
	;; [unrolled: 1-line block ×4, first 2 shown]
	ds_store_b128 v4, v[174:177] offset:704
	ds_store_b128 v4, v[144:147] offset:64
	ds_store_b128 v4, v[0:3]
	ds_store_b128 v4, v[160:163] offset:768
.LBB0_5:
	s_or_b32 exec_lo, exec_lo, s33
	v_add_co_u32 v0, s1, 0xffffffcc, v255
	v_cmp_gt_u16_e64 s0, 52, v255
	s_wait_alu 0xf1ff
	v_add_co_ci_u32_e64 v1, null, 0, -1, s1
	global_wb scope:SCOPE_SE
	s_wait_storecnt 0x0
	s_wait_loadcnt_dscnt 0x0
	s_barrier_signal -1
	v_cndmask_b32_e64 v0, v0, v255, s0
	v_cndmask_b32_e64 v1, v1, 0, s0
	s_barrier_wait -1
	global_inv scope:SCOPE_SE
	ds_load_b128 v[60:63], v12 offset:7488
	ds_load_b128 v[64:67], v12 offset:8736
	v_lshlrev_b64_e32 v[1:2], 4, v[0:1]
	ds_load_b128 v[72:75], v12 offset:9984
	ds_load_b128 v[76:79], v12 offset:11232
	v_and_b32_e32 v24, 0xffff, v234
	ds_load_b128 v[80:83], v12 offset:12480
	ds_load_b128 v[116:119], v12 offset:13728
	v_add_co_u32 v1, s0, s10, v1
	s_wait_alu 0xf1ff
	v_add_co_ci_u32_e64 v2, s0, s11, v2, s0
	v_mul_u32_u24_e32 v24, 0x4ec5, v24
	v_and_b32_e32 v28, 0xffff, v235
	v_cmp_lt_u16_e64 s0, 51, v255
	global_load_b128 v[52:55], v[1:2], off offset:800
	s_mov_b32 s12, 0xe8584caa
	v_lshrrev_b32_e32 v36, 20, v24
	v_mul_u32_u24_e32 v28, 0x4ec5, v28
	s_mov_b32 s13, 0x3febb67a
	s_mov_b32 s15, 0xbfebb67a
	s_wait_alu 0xfffe
	s_mov_b32 s14, s12
	v_mul_lo_u16 v24, v36, 52
	v_lshrrev_b32_e32 v38, 20, v28
	s_delay_alu instid0(VALU_DEP_2) | instskip(NEXT) | instid1(VALU_DEP_2)
	v_sub_nc_u16 v37, v234, v24
	v_mul_lo_u16 v28, v38, 52
	s_delay_alu instid0(VALU_DEP_2) | instskip(NEXT) | instid1(VALU_DEP_2)
	v_and_b32_e32 v24, 0xffff, v37
	v_sub_nc_u16 v39, v235, v28
	s_delay_alu instid0(VALU_DEP_2) | instskip(NEXT) | instid1(VALU_DEP_2)
	v_lshlrev_b32_e32 v24, 4, v24
	v_and_b32_e32 v28, 0xffff, v39
	s_delay_alu instid0(VALU_DEP_1) | instskip(SKIP_2) | instid1(VALU_DEP_1)
	v_lshlrev_b32_e32 v28, 4, v28
	s_wait_loadcnt_dscnt 0x5
	v_mul_f64_e32 v[1:2], v[62:63], v[54:55]
	v_fma_f64 v[4:5], v[60:61], v[52:53], -v[1:2]
	v_mul_f64_e32 v[1:2], v[60:61], v[54:55]
	s_delay_alu instid0(VALU_DEP_1) | instskip(SKIP_1) | instid1(VALU_DEP_1)
	v_fma_f64 v[6:7], v[62:63], v[52:53], v[1:2]
	v_and_b32_e32 v1, 0xff, v15
	v_mul_lo_u16 v1, 0x4f, v1
	s_delay_alu instid0(VALU_DEP_1) | instskip(NEXT) | instid1(VALU_DEP_1)
	v_lshrrev_b16 v3, 12, v1
	v_mul_lo_u16 v1, v3, 52
	s_delay_alu instid0(VALU_DEP_1) | instskip(NEXT) | instid1(VALU_DEP_1)
	v_sub_nc_u16 v1, v15, v1
	v_and_b32_e32 v104, 0xff, v1
	s_delay_alu instid0(VALU_DEP_1) | instskip(SKIP_3) | instid1(VALU_DEP_1)
	v_lshlrev_b32_e32 v1, 4, v104
	global_load_b128 v[60:63], v1, s[10:11] offset:800
	s_wait_loadcnt_dscnt 0x4
	v_mul_f64_e32 v[1:2], v[66:67], v[62:63]
	v_fma_f64 v[8:9], v[64:65], v[60:61], -v[1:2]
	v_mul_f64_e32 v[1:2], v[64:65], v[62:63]
	s_delay_alu instid0(VALU_DEP_1) | instskip(SKIP_1) | instid1(VALU_DEP_1)
	v_fma_f64 v[10:11], v[66:67], v[60:61], v[1:2]
	v_and_b32_e32 v1, 0xff, v231
	v_mul_lo_u16 v2, 0x4f, v1
	s_delay_alu instid0(VALU_DEP_1) | instskip(NEXT) | instid1(VALU_DEP_1)
	v_lshrrev_b16 v32, 12, v2
	v_mul_lo_u16 v1, v32, 52
	s_delay_alu instid0(VALU_DEP_1) | instskip(NEXT) | instid1(VALU_DEP_1)
	v_sub_nc_u16 v1, v231, v1
	v_and_b32_e32 v33, 0xff, v1
	s_delay_alu instid0(VALU_DEP_1) | instskip(SKIP_2) | instid1(VALU_DEP_1)
	v_lshlrev_b32_e32 v1, 4, v33
	global_load_b128 v[64:67], v1, s[10:11] offset:800
	v_and_b32_e32 v1, 0xffff, v230
	v_mul_u32_u24_e32 v1, 0x4ec5, v1
	s_delay_alu instid0(VALU_DEP_1) | instskip(SKIP_1) | instid1(VALU_DEP_2)
	v_lshrrev_b32_e32 v34, 20, v1
	v_lshrrev_b32_e32 v1, 21, v1
	v_mul_lo_u16 v20, v34, 52
	s_delay_alu instid0(VALU_DEP_2) | instskip(NEXT) | instid1(VALU_DEP_2)
	v_mul_lo_u16 v1, 0x68, v1
	v_sub_nc_u16 v35, v230, v20
	s_delay_alu instid0(VALU_DEP_2) | instskip(NEXT) | instid1(VALU_DEP_2)
	v_sub_nc_u16 v47, v230, v1
	v_and_b32_e32 v20, 0xffff, v35
	s_delay_alu instid0(VALU_DEP_2) | instskip(NEXT) | instid1(VALU_DEP_2)
	v_lshlrev_b16 v1, 5, v47
	v_lshlrev_b32_e32 v20, 4, v20
	s_delay_alu instid0(VALU_DEP_2) | instskip(SKIP_3) | instid1(VALU_DEP_2)
	v_and_b32_e32 v1, 0xffff, v1
	s_wait_loadcnt_dscnt 0x3
	v_mul_f64_e32 v[16:17], v[74:75], v[66:67]
	v_mul_f64_e32 v[18:19], v[72:73], v[66:67]
	v_fma_f64 v[16:17], v[72:73], v[64:65], -v[16:17]
	s_delay_alu instid0(VALU_DEP_2) | instskip(SKIP_4) | instid1(VALU_DEP_2)
	v_fma_f64 v[18:19], v[74:75], v[64:65], v[18:19]
	global_load_b128 v[72:75], v20, s[10:11] offset:800
	s_wait_loadcnt_dscnt 0x2
	v_mul_f64_e32 v[20:21], v[78:79], v[74:75]
	v_mul_f64_e32 v[22:23], v[76:77], v[74:75]
	v_fma_f64 v[20:21], v[76:77], v[72:73], -v[20:21]
	s_delay_alu instid0(VALU_DEP_2) | instskip(SKIP_4) | instid1(VALU_DEP_2)
	v_fma_f64 v[22:23], v[78:79], v[72:73], v[22:23]
	global_load_b128 v[76:79], v24, s[10:11] offset:800
	;; [unrolled: 7-line block ×3, first 2 shown]
	s_wait_loadcnt_dscnt 0x0
	v_mul_f64_e32 v[28:29], v[118:119], v[82:83]
	v_mul_f64_e32 v[30:31], v[116:117], v[82:83]
	v_fma_f64 v[28:29], v[116:117], v[80:81], -v[28:29]
	s_delay_alu instid0(VALU_DEP_2)
	v_fma_f64 v[30:31], v[118:119], v[80:81], v[30:31]
	ds_load_b128 v[116:119], v12
	ds_load_b128 v[128:131], v12 offset:1248
	ds_load_b128 v[132:135], v12 offset:2496
	;; [unrolled: 1-line block ×5, first 2 shown]
	global_wb scope:SCOPE_SE
	s_wait_dscnt 0x0
	s_barrier_signal -1
	s_barrier_wait -1
	global_inv scope:SCOPE_SE
	v_add_f64_e64 v[156:157], v[132:133], -v[16:17]
	v_add_f64_e64 v[158:159], v[134:135], -v[18:19]
	;; [unrolled: 1-line block ×4, first 2 shown]
	v_cndmask_b32_e64 v4, 0, 0x68, s0
	v_add_f64_e64 v[164:165], v[136:137], -v[20:21]
	v_add_f64_e64 v[166:167], v[138:139], -v[22:23]
	;; [unrolled: 1-line block ×4, first 2 shown]
	v_add_nc_u32_e32 v0, v0, v4
	v_cmp_gt_u16_e64 s0, 26, v255
	s_delay_alu instid0(VALU_DEP_2)
	v_lshl_add_u32 v0, v0, 4, v13
	v_add_f64_e64 v[172:173], v[144:145], -v[28:29]
	scratch_store_b32 off, v0, off offset:200 ; 4-byte Folded Spill
	v_add_f64_e64 v[174:175], v[146:147], -v[30:31]
	v_fma_f64 v[132:133], v[132:133], 2.0, -v[156:157]
	v_fma_f64 v[134:135], v[134:135], 2.0, -v[158:159]
	;; [unrolled: 1-line block ×4, first 2 shown]
	ds_store_b128 v0, v[124:127] offset:832
	v_add_f64_e64 v[124:125], v[128:129], -v[8:9]
	v_add_f64_e64 v[126:127], v[130:131], -v[10:11]
	v_fma_f64 v[136:137], v[136:137], 2.0, -v[164:165]
	v_fma_f64 v[138:139], v[138:139], 2.0, -v[166:167]
	;; [unrolled: 1-line block ×4, first 2 shown]
	v_add_co_u32 v11, s1, 0xffffffe6, v255
	s_wait_alu 0xf1ff
	s_delay_alu instid0(VALU_DEP_1) | instskip(SKIP_3) | instid1(VALU_DEP_3)
	v_cndmask_b32_e64 v15, v11, v15, s0
	v_add_co_ci_u32_e64 v11, null, 0, -1, s1
	v_fma_f64 v[144:145], v[144:145], 2.0, -v[172:173]
	v_fma_f64 v[146:147], v[146:147], 2.0, -v[174:175]
	v_cndmask_b32_e64 v16, v11, v40, s0
	v_lshrrev_b16 v11, 13, v2
	s_delay_alu instid0(VALU_DEP_2) | instskip(NEXT) | instid1(VALU_DEP_2)
	v_lshlrev_b64_e32 v[16:17], 5, v[15:16]
	v_mul_lo_u16 v2, 0x68, v11
	s_delay_alu instid0(VALU_DEP_2) | instskip(SKIP_1) | instid1(VALU_DEP_3)
	v_add_co_u32 v16, s0, s10, v16
	s_wait_alu 0xf1ff
	v_add_co_ci_u32_e64 v17, s0, s11, v17, s0
	s_delay_alu instid0(VALU_DEP_3)
	v_sub_nc_u16 v2, v231, v2
	v_add_co_u32 v1, s0, s10, v1
	ds_store_b128 v0, v[116:119]
	v_and_b32_e32 v0, 0xffff, v3
	v_fma_f64 v[128:129], v[128:129], 2.0, -v[124:125]
	v_fma_f64 v[130:131], v[130:131], 2.0, -v[126:127]
	v_and_b32_e32 v46, 0xff, v2
	s_delay_alu instid0(VALU_DEP_4) | instskip(NEXT) | instid1(VALU_DEP_2)
	v_mul_u32_u24_e32 v0, 0x68, v0
	v_lshlrev_b32_e32 v2, 5, v46
	s_delay_alu instid0(VALU_DEP_2) | instskip(NEXT) | instid1(VALU_DEP_1)
	v_add_nc_u32_e32 v0, v0, v104
	v_lshl_add_u32 v0, v0, 4, v13
	ds_store_b128 v0, v[124:127] offset:832
	scratch_store_b32 off, v0, off offset:220 ; 4-byte Folded Spill
	ds_store_b128 v0, v[128:131]
	v_and_b32_e32 v0, 0xffff, v32
	s_delay_alu instid0(VALU_DEP_1) | instskip(NEXT) | instid1(VALU_DEP_1)
	v_mul_u32_u24_e32 v0, 0x68, v0
	v_add_nc_u32_e32 v0, v0, v33
	s_delay_alu instid0(VALU_DEP_1) | instskip(SKIP_4) | instid1(VALU_DEP_1)
	v_lshl_add_u32 v0, v0, 4, v13
	ds_store_b128 v0, v[132:135]
	ds_store_b128 v0, v[156:159] offset:832
	scratch_store_b32 off, v0, off offset:216 ; 4-byte Folded Spill
	v_mad_u16 v0, 0x68, v34, v35
	v_and_b32_e32 v0, 0xffff, v0
	s_delay_alu instid0(VALU_DEP_1) | instskip(SKIP_4) | instid1(VALU_DEP_1)
	v_lshl_add_u32 v0, v0, 4, v13
	ds_store_b128 v0, v[136:139]
	ds_store_b128 v0, v[164:167] offset:832
	scratch_store_b32 off, v0, off offset:212 ; 4-byte Folded Spill
	v_mad_u16 v0, 0x68, v36, v37
	v_and_b32_e32 v0, 0xffff, v0
	;; [unrolled: 7-line block ×3, first 2 shown]
	s_delay_alu instid0(VALU_DEP_1)
	v_lshl_add_u32 v0, v0, 4, v13
	ds_store_b128 v0, v[144:147]
	ds_store_b128 v0, v[172:175] offset:832
	scratch_store_b32 off, v0, off offset:204 ; 4-byte Folded Spill
	v_lshlrev_b32_e32 v0, 4, v41
	global_wb scope:SCOPE_SE
	s_wait_storecnt_dscnt 0x0
	s_barrier_signal -1
	s_barrier_wait -1
	global_inv scope:SCOPE_SE
	global_load_b128 v[104:107], v0, s[10:11] offset:1632
	ds_load_b128 v[116:119], v12 offset:4992
	ds_load_b128 v[128:131], v12 offset:6240
	;; [unrolled: 1-line block ×11, first 2 shown]
	s_wait_loadcnt_dscnt 0xa
	v_mul_f64_e32 v[3:4], v[118:119], v[106:107]
	v_mul_f64_e32 v[5:6], v[116:117], v[106:107]
	s_delay_alu instid0(VALU_DEP_2) | instskip(NEXT) | instid1(VALU_DEP_2)
	v_fma_f64 v[3:4], v[116:117], v[104:105], -v[3:4]
	v_fma_f64 v[5:6], v[118:119], v[104:105], v[5:6]
	global_load_b128 v[116:119], v0, s[10:11] offset:1648
	s_wait_loadcnt_dscnt 0x8
	v_mul_f64_e32 v[7:8], v[126:127], v[118:119]
	v_mul_f64_e32 v[9:10], v[124:125], v[118:119]
	s_delay_alu instid0(VALU_DEP_2) | instskip(NEXT) | instid1(VALU_DEP_2)
	v_fma_f64 v[7:8], v[124:125], v[116:117], -v[7:8]
	v_fma_f64 v[9:10], v[126:127], v[116:117], v[9:10]
	global_load_b128 v[124:127], v[16:17], off offset:1632
	v_add_f64_e32 v[38:39], v[3:4], v[7:8]
	v_add_f64_e32 v[40:41], v[5:6], v[9:10]
	s_wait_loadcnt 0x0
	v_mul_f64_e32 v[18:19], v[130:131], v[126:127]
	v_mul_f64_e32 v[20:21], v[128:129], v[126:127]
	s_delay_alu instid0(VALU_DEP_2) | instskip(NEXT) | instid1(VALU_DEP_2)
	v_fma_f64 v[18:19], v[128:129], v[124:125], -v[18:19]
	v_fma_f64 v[20:21], v[130:131], v[124:125], v[20:21]
	global_load_b128 v[128:131], v[16:17], off offset:1648
	s_wait_loadcnt_dscnt 0x7
	v_mul_f64_e32 v[16:17], v[134:135], v[130:131]
	v_mul_f64_e32 v[22:23], v[132:133], v[130:131]
	s_delay_alu instid0(VALU_DEP_2) | instskip(NEXT) | instid1(VALU_DEP_2)
	v_fma_f64 v[16:17], v[132:133], v[128:129], -v[16:17]
	v_fma_f64 v[22:23], v[134:135], v[128:129], v[22:23]
	global_load_b128 v[132:135], v2, s[10:11] offset:1632
	s_wait_loadcnt_dscnt 0x6
	v_mul_f64_e32 v[24:25], v[138:139], v[134:135]
	v_mul_f64_e32 v[26:27], v[136:137], v[134:135]
	s_delay_alu instid0(VALU_DEP_2) | instskip(NEXT) | instid1(VALU_DEP_2)
	v_fma_f64 v[24:25], v[136:137], v[132:133], -v[24:25]
	v_fma_f64 v[26:27], v[138:139], v[132:133], v[26:27]
	global_load_b128 v[136:139], v2, s[10:11] offset:1648
	s_wait_alu 0xf1ff
	v_add_co_ci_u32_e64 v2, null, s11, 0, s0
	v_cmp_lt_u16_e64 s0, 25, v255
	s_wait_loadcnt_dscnt 0x4
	v_mul_f64_e32 v[28:29], v[142:143], v[138:139]
	v_mul_f64_e32 v[30:31], v[140:141], v[138:139]
	s_delay_alu instid0(VALU_DEP_2) | instskip(NEXT) | instid1(VALU_DEP_2)
	v_fma_f64 v[28:29], v[140:141], v[136:137], -v[28:29]
	v_fma_f64 v[30:31], v[142:143], v[136:137], v[30:31]
	global_load_b128 v[140:143], v[1:2], off offset:1632
	s_wait_loadcnt 0x0
	v_mul_f64_e32 v[32:33], v[146:147], v[142:143]
	v_mul_f64_e32 v[34:35], v[144:145], v[142:143]
	s_delay_alu instid0(VALU_DEP_2) | instskip(NEXT) | instid1(VALU_DEP_2)
	v_fma_f64 v[32:33], v[144:145], v[140:141], -v[32:33]
	v_fma_f64 v[34:35], v[146:147], v[140:141], v[34:35]
	global_load_b128 v[144:147], v[1:2], off offset:1648
	s_wait_loadcnt_dscnt 0x3
	v_mul_f64_e32 v[1:2], v[158:159], v[146:147]
	v_mul_f64_e32 v[36:37], v[156:157], v[146:147]
	s_delay_alu instid0(VALU_DEP_2) | instskip(NEXT) | instid1(VALU_DEP_2)
	v_fma_f64 v[1:2], v[156:157], v[144:145], -v[1:2]
	v_fma_f64 v[36:37], v[158:159], v[144:145], v[36:37]
	ds_load_b128 v[156:159], v12
	global_wb scope:SCOPE_SE
	s_wait_dscnt 0x0
	s_barrier_signal -1
	s_barrier_wait -1
	global_inv scope:SCOPE_SE
	v_fma_f64 v[38:39], v[38:39], -0.5, v[156:157]
	v_fma_f64 v[40:41], v[40:41], -0.5, v[158:159]
	v_add_f64_e32 v[42:43], v[158:159], v[5:6]
	v_add_f64_e32 v[44:45], v[156:157], v[3:4]
	v_add_f64_e64 v[5:6], v[5:6], -v[9:10]
	v_add_f64_e64 v[3:4], v[3:4], -v[7:8]
	s_delay_alu instid0(VALU_DEP_4) | instskip(NEXT) | instid1(VALU_DEP_4)
	v_add_f64_e32 v[158:159], v[42:43], v[9:10]
	v_add_f64_e32 v[156:157], v[44:45], v[7:8]
	s_delay_alu instid0(VALU_DEP_4)
	v_fma_f64 v[164:165], v[5:6], s[12:13], v[38:39]
	s_wait_alu 0xfffe
	v_fma_f64 v[168:169], v[5:6], s[14:15], v[38:39]
	v_fma_f64 v[166:167], v[3:4], s[14:15], v[40:41]
	;; [unrolled: 1-line block ×3, first 2 shown]
	v_add_f64_e32 v[3:4], v[18:19], v[16:17]
	v_add_f64_e32 v[5:6], v[20:21], v[22:23]
	;; [unrolled: 1-line block ×3, first 2 shown]
	v_add_f64_e64 v[20:21], v[20:21], -v[22:23]
	v_add_f64_e32 v[9:10], v[172:173], v[18:19]
	ds_store_b128 v12, v[156:159]
	ds_store_b128 v12, v[164:167] offset:1664
	ds_store_b128 v12, v[168:171] offset:3328
	v_fma_f64 v[3:4], v[3:4], -0.5, v[172:173]
	v_fma_f64 v[5:6], v[5:6], -0.5, v[174:175]
	v_add_f64_e32 v[174:175], v[7:8], v[22:23]
	v_add_f64_e64 v[7:8], v[18:19], -v[16:17]
	v_add_f64_e32 v[172:173], v[9:10], v[16:17]
	v_add_f64_e32 v[9:10], v[184:185], v[24:25]
	v_add_f64_e64 v[16:17], v[26:27], -v[30:31]
	v_fma_f64 v[176:177], v[20:21], s[12:13], v[3:4]
	v_fma_f64 v[180:181], v[20:21], s[14:15], v[3:4]
	v_add_f64_e32 v[3:4], v[24:25], v[28:29]
	v_fma_f64 v[178:179], v[7:8], s[14:15], v[5:6]
	v_fma_f64 v[182:183], v[7:8], s[12:13], v[5:6]
	v_add_f64_e32 v[5:6], v[26:27], v[30:31]
	v_add_f64_e32 v[7:8], v[186:187], v[26:27]
	v_lshlrev_b32_e32 v20, 4, v232
	v_fma_f64 v[3:4], v[3:4], -0.5, v[184:185]
	v_add_f64_e32 v[184:185], v[9:10], v[28:29]
	v_add_f64_e32 v[9:10], v[198:199], v[32:33]
	v_fma_f64 v[5:6], v[5:6], -0.5, v[186:187]
	v_add_f64_e32 v[186:187], v[7:8], v[30:31]
	v_add_f64_e64 v[7:8], v[24:25], -v[28:29]
	v_lshlrev_b32_e32 v28, 5, v231
	v_fma_f64 v[188:189], v[16:17], s[12:13], v[3:4]
	v_fma_f64 v[194:195], v[16:17], s[14:15], v[3:4]
	v_add_f64_e32 v[3:4], v[32:33], v[1:2]
	v_add_f64_e64 v[16:17], v[34:35], -v[36:37]
	v_fma_f64 v[190:191], v[7:8], s[14:15], v[5:6]
	v_fma_f64 v[196:197], v[7:8], s[12:13], v[5:6]
	v_add_f64_e32 v[5:6], v[34:35], v[36:37]
	v_add_f64_e32 v[7:8], v[200:201], v[34:35]
	v_fma_f64 v[3:4], v[3:4], -0.5, v[198:199]
	v_add_f64_e32 v[198:199], v[9:10], v[1:2]
	v_add_f64_e64 v[1:2], v[32:33], -v[1:2]
	v_fma_f64 v[5:6], v[5:6], -0.5, v[200:201]
	v_add_f64_e32 v[200:201], v[7:8], v[36:37]
	v_lshlrev_b32_e32 v36, 5, v230
	v_fma_f64 v[206:207], v[16:17], s[14:15], v[3:4]
	v_fma_f64 v[202:203], v[16:17], s[12:13], v[3:4]
	v_fma_f64 v[208:209], v[1:2], s[12:13], v[5:6]
	v_fma_f64 v[204:205], v[1:2], s[14:15], v[5:6]
	s_wait_alu 0xf1ff
	v_cndmask_b32_e64 v1, 0, 0x138, s0
	s_add_nc_u64 s[0:1], s[8:9], 0x3a80
	s_delay_alu instid0(VALU_DEP_1) | instskip(NEXT) | instid1(VALU_DEP_1)
	v_add_nc_u32_e32 v1, v15, v1
	v_lshl_add_u32 v14, v1, 4, v13
	v_and_b32_e32 v1, 0xffff, v11
	ds_store_b128 v14, v[172:175]
	ds_store_b128 v14, v[176:179] offset:1664
	ds_store_b128 v14, v[180:183] offset:3328
	v_mul_u32_u24_e32 v1, 0x138, v1
	s_delay_alu instid0(VALU_DEP_1) | instskip(NEXT) | instid1(VALU_DEP_1)
	v_add_nc_u32_e32 v1, v1, v46
	v_lshl_add_u32 v15, v1, 4, v13
	v_and_b32_e32 v1, 0xffff, v47
	ds_store_b128 v15, v[184:187]
	ds_store_b128 v15, v[188:191] offset:1664
	ds_store_b128 v15, v[194:197] offset:3328
	v_lshl_add_u32 v1, v1, 4, v13
	ds_store_b128 v1, v[198:201] offset:9984
	ds_store_b128 v1, v[202:205] offset:11648
	scratch_store_b32 off, v1, off offset:232 ; 4-byte Folded Spill
	ds_store_b128 v1, v[206:209] offset:13312
	global_wb scope:SCOPE_SE
	s_wait_storecnt_dscnt 0x0
	s_barrier_signal -1
	s_barrier_wait -1
	global_inv scope:SCOPE_SE
	global_load_b128 v[156:159], v0, s[10:11] offset:4960
	ds_load_b128 v[164:167], v12 offset:4992
	s_clause 0x5
	global_load_b128 v[168:171], v20, s[10:11] offset:4960
	global_load_b128 v[172:175], v20, s[10:11] offset:4976
	global_load_b128 v[176:179], v28, s[10:11] offset:4960
	global_load_b128 v[180:183], v28, s[10:11] offset:4976
	global_load_b128 v[184:187], v36, s[10:11] offset:4960
	global_load_b128 v[188:191], v36, s[10:11] offset:4976
	ds_load_b128 v[214:217], v12 offset:2496
	ds_load_b128 v[230:233], v12 offset:3744
	;; [unrolled: 1-line block ×3, first 2 shown]
	s_wait_loadcnt_dscnt 0x603
	v_mul_f64_e32 v[1:2], v[166:167], v[158:159]
	s_delay_alu instid0(VALU_DEP_1) | instskip(SKIP_1) | instid1(VALU_DEP_1)
	v_fma_f64 v[4:5], v[164:165], v[156:157], -v[1:2]
	v_mul_f64_e32 v[1:2], v[164:165], v[158:159]
	v_fma_f64 v[6:7], v[166:167], v[156:157], v[1:2]
	global_load_b128 v[164:167], v0, s[10:11] offset:4976
	ds_load_b128 v[0:3], v12 offset:9984
	s_wait_loadcnt_dscnt 0x0
	v_mul_f64_e32 v[8:9], v[2:3], v[166:167]
	s_delay_alu instid0(VALU_DEP_1) | instskip(SKIP_1) | instid1(VALU_DEP_2)
	v_fma_f64 v[8:9], v[0:1], v[164:165], -v[8:9]
	v_mul_f64_e32 v[0:1], v[0:1], v[166:167]
	v_add_f64_e32 v[40:41], v[4:5], v[8:9]
	s_delay_alu instid0(VALU_DEP_2) | instskip(SKIP_4) | instid1(VALU_DEP_2)
	v_fma_f64 v[10:11], v[2:3], v[164:165], v[0:1]
	ds_load_b128 v[0:3], v12 offset:6240
	s_wait_dscnt 0x0
	v_mul_f64_e32 v[16:17], v[2:3], v[170:171]
	v_add_f64_e32 v[42:43], v[6:7], v[10:11]
	v_fma_f64 v[16:17], v[0:1], v[168:169], -v[16:17]
	v_mul_f64_e32 v[0:1], v[0:1], v[170:171]
	s_delay_alu instid0(VALU_DEP_1) | instskip(SKIP_3) | instid1(VALU_DEP_1)
	v_fma_f64 v[18:19], v[2:3], v[168:169], v[0:1]
	ds_load_b128 v[0:3], v12 offset:11232
	s_wait_dscnt 0x0
	v_mul_f64_e32 v[20:21], v[2:3], v[174:175]
	v_fma_f64 v[20:21], v[0:1], v[172:173], -v[20:21]
	v_mul_f64_e32 v[0:1], v[0:1], v[174:175]
	s_delay_alu instid0(VALU_DEP_1) | instskip(SKIP_3) | instid1(VALU_DEP_1)
	v_fma_f64 v[22:23], v[2:3], v[172:173], v[0:1]
	ds_load_b128 v[0:3], v12 offset:7488
	s_wait_dscnt 0x0
	v_mul_f64_e32 v[24:25], v[2:3], v[178:179]
	;; [unrolled: 7-line block ×5, first 2 shown]
	v_fma_f64 v[36:37], v[0:1], v[188:189], -v[36:37]
	v_mul_f64_e32 v[0:1], v[0:1], v[190:191]
	s_delay_alu instid0(VALU_DEP_1)
	v_fma_f64 v[38:39], v[2:3], v[188:189], v[0:1]
	ds_load_b128 v[0:3], v12
	s_wait_dscnt 0x0
	v_fma_f64 v[40:41], v[40:41], -0.5, v[0:1]
	v_fma_f64 v[42:43], v[42:43], -0.5, v[2:3]
	v_add_f64_e32 v[2:3], v[2:3], v[6:7]
	v_add_f64_e32 v[0:1], v[0:1], v[4:5]
	v_add_f64_e64 v[6:7], v[6:7], -v[10:11]
	v_add_f64_e64 v[4:5], v[4:5], -v[8:9]
	s_delay_alu instid0(VALU_DEP_4) | instskip(NEXT) | instid1(VALU_DEP_4)
	v_add_f64_e32 v[2:3], v[2:3], v[10:11]
	v_add_f64_e32 v[0:1], v[0:1], v[8:9]
	s_delay_alu instid0(VALU_DEP_4)
	v_fma_f64 v[194:195], v[6:7], s[12:13], v[40:41]
	v_fma_f64 v[198:199], v[6:7], s[14:15], v[40:41]
	;; [unrolled: 1-line block ×4, first 2 shown]
	v_add_f64_e32 v[4:5], v[16:17], v[20:21]
	v_add_f64_e32 v[6:7], v[18:19], v[22:23]
	;; [unrolled: 1-line block ×3, first 2 shown]
	v_add_f64_e64 v[18:19], v[18:19], -v[22:23]
	v_add_f64_e32 v[10:11], v[202:203], v[16:17]
	ds_store_b128 v12, v[0:3]
	ds_store_b128 v12, v[194:197] offset:4992
	v_lshl_add_u32 v0, v255, 4, v13
	v_fma_f64 v[4:5], v[4:5], -0.5, v[202:203]
	v_fma_f64 v[6:7], v[6:7], -0.5, v[204:205]
	v_add_f64_e32 v[204:205], v[8:9], v[22:23]
	v_add_f64_e64 v[8:9], v[16:17], -v[20:21]
	v_add_f64_e64 v[16:17], v[26:27], -v[30:31]
	v_add_f64_e32 v[202:203], v[10:11], v[20:21]
	v_add_f64_e32 v[10:11], v[214:215], v[24:25]
	v_fma_f64 v[206:207], v[18:19], s[12:13], v[4:5]
	v_fma_f64 v[210:211], v[18:19], s[14:15], v[4:5]
	v_add_f64_e32 v[4:5], v[24:25], v[28:29]
	v_fma_f64 v[208:209], v[8:9], s[14:15], v[6:7]
	v_fma_f64 v[212:213], v[8:9], s[12:13], v[6:7]
	v_add_f64_e32 v[6:7], v[26:27], v[30:31]
	v_add_f64_e32 v[8:9], v[216:217], v[26:27]
	ds_store_b128 v0, v[198:201] offset:9984
	ds_store_b128 v12, v[202:205] offset:1248
	;; [unrolled: 1-line block ×3, first 2 shown]
	v_fma_f64 v[4:5], v[4:5], -0.5, v[214:215]
	v_add_f64_e32 v[214:215], v[10:11], v[28:29]
	v_add_f64_e32 v[10:11], v[230:231], v[32:33]
	v_fma_f64 v[6:7], v[6:7], -0.5, v[216:217]
	v_add_f64_e32 v[216:217], v[8:9], v[30:31]
	v_add_f64_e64 v[8:9], v[24:25], -v[28:29]
	scratch_store_b32 off, v0, off offset:224 ; 4-byte Folded Spill
	v_fma_f64 v[218:219], v[16:17], s[12:13], v[4:5]
	v_fma_f64 v[222:223], v[16:17], s[14:15], v[4:5]
	v_add_f64_e32 v[4:5], v[32:33], v[36:37]
	v_add_f64_e64 v[16:17], v[34:35], -v[38:39]
	v_fma_f64 v[220:221], v[8:9], s[14:15], v[6:7]
	v_fma_f64 v[224:225], v[8:9], s[12:13], v[6:7]
	v_add_f64_e32 v[6:7], v[34:35], v[38:39]
	v_add_f64_e32 v[8:9], v[232:233], v[34:35]
	v_fma_f64 v[4:5], v[4:5], -0.5, v[230:231]
	v_add_f64_e32 v[230:231], v[10:11], v[36:37]
	s_delay_alu instid0(VALU_DEP_4) | instskip(NEXT) | instid1(VALU_DEP_4)
	v_fma_f64 v[6:7], v[6:7], -0.5, v[232:233]
	v_add_f64_e32 v[232:233], v[8:9], v[38:39]
	v_add_f64_e64 v[8:9], v[32:33], -v[36:37]
	v_fma_f64 v[237:238], v[16:17], s[12:13], v[4:5]
	v_fma_f64 v[241:242], v[16:17], s[14:15], v[4:5]
	s_delay_alu instid0(VALU_DEP_3)
	v_fma_f64 v[239:240], v[8:9], s[14:15], v[6:7]
	v_fma_f64 v[243:244], v[8:9], s[12:13], v[6:7]
	ds_store_b128 v0, v[210:213] offset:11232
	ds_store_b128 v12, v[214:217] offset:2496
	;; [unrolled: 1-line block ×7, first 2 shown]
	global_wb scope:SCOPE_SE
	s_wait_storecnt_dscnt 0x0
	s_barrier_signal -1
	s_barrier_wait -1
	global_inv scope:SCOPE_SE
	global_load_b128 v[0:3], v[192:193], off offset:14976
	ds_load_b128 v[192:195], v12
	ds_load_b128 v[200:203], v12 offset:1248
	v_lshlrev_b32_e32 v6, 4, v255
	ds_load_b128 v[196:199], v12 offset:7488
	ds_load_b128 v[204:207], v12 offset:8736
	;; [unrolled: 1-line block ×10, first 2 shown]
	s_wait_loadcnt_dscnt 0xb
	v_mul_f64_e32 v[4:5], v[194:195], v[2:3]
	v_mul_f64_e32 v[2:3], v[192:193], v[2:3]
	s_delay_alu instid0(VALU_DEP_2) | instskip(NEXT) | instid1(VALU_DEP_2)
	v_fma_f64 v[192:193], v[192:193], v[0:1], -v[4:5]
	v_fma_f64 v[194:195], v[194:195], v[0:1], v[2:3]
	global_load_b128 v[0:3], v6, s[0:1] offset:7488
	s_wait_loadcnt_dscnt 0x9
	v_mul_f64_e32 v[4:5], v[198:199], v[2:3]
	v_mul_f64_e32 v[2:3], v[196:197], v[2:3]
	s_delay_alu instid0(VALU_DEP_2) | instskip(NEXT) | instid1(VALU_DEP_2)
	v_fma_f64 v[196:197], v[196:197], v[0:1], -v[4:5]
	v_fma_f64 v[198:199], v[198:199], v[0:1], v[2:3]
	global_load_b128 v[0:3], v6, s[0:1] offset:1248
	s_wait_loadcnt 0x0
	v_mul_f64_e32 v[4:5], v[202:203], v[2:3]
	v_mul_f64_e32 v[2:3], v[200:201], v[2:3]
	s_delay_alu instid0(VALU_DEP_2) | instskip(NEXT) | instid1(VALU_DEP_2)
	v_fma_f64 v[200:201], v[200:201], v[0:1], -v[4:5]
	v_fma_f64 v[202:203], v[202:203], v[0:1], v[2:3]
	global_load_b128 v[0:3], v6, s[0:1] offset:8736
	s_wait_loadcnt_dscnt 0x8
	v_mul_f64_e32 v[4:5], v[206:207], v[2:3]
	v_mul_f64_e32 v[2:3], v[204:205], v[2:3]
	s_delay_alu instid0(VALU_DEP_2) | instskip(NEXT) | instid1(VALU_DEP_2)
	v_fma_f64 v[204:205], v[204:205], v[0:1], -v[4:5]
	v_fma_f64 v[206:207], v[206:207], v[0:1], v[2:3]
	global_load_b128 v[0:3], v6, s[0:1] offset:2496
	s_wait_loadcnt_dscnt 0x7
	;; [unrolled: 7-line block ×3, first 2 shown]
	v_mul_f64_e32 v[4:5], v[214:215], v[2:3]
	v_mul_f64_e32 v[2:3], v[212:213], v[2:3]
	s_delay_alu instid0(VALU_DEP_2) | instskip(NEXT) | instid1(VALU_DEP_2)
	v_fma_f64 v[212:213], v[212:213], v[0:1], -v[4:5]
	v_fma_f64 v[214:215], v[214:215], v[0:1], v[2:3]
	global_load_b128 v[0:3], v6, s[0:1] offset:3744
	s_wait_loadcnt 0x0
	v_mul_f64_e32 v[4:5], v[218:219], v[2:3]
	v_mul_f64_e32 v[2:3], v[216:217], v[2:3]
	s_delay_alu instid0(VALU_DEP_2) | instskip(NEXT) | instid1(VALU_DEP_2)
	v_fma_f64 v[216:217], v[216:217], v[0:1], -v[4:5]
	v_fma_f64 v[218:219], v[218:219], v[0:1], v[2:3]
	global_load_b128 v[0:3], v6, s[0:1] offset:11232
	s_wait_loadcnt_dscnt 0x4
	v_mul_f64_e32 v[4:5], v[222:223], v[2:3]
	v_mul_f64_e32 v[2:3], v[220:221], v[2:3]
	s_delay_alu instid0(VALU_DEP_2) | instskip(NEXT) | instid1(VALU_DEP_2)
	v_fma_f64 v[220:221], v[220:221], v[0:1], -v[4:5]
	v_fma_f64 v[222:223], v[222:223], v[0:1], v[2:3]
	global_load_b128 v[0:3], v6, s[0:1] offset:4992
	s_wait_loadcnt_dscnt 0x3
	v_mul_f64_e32 v[4:5], v[232:233], v[2:3]
	v_mul_f64_e32 v[2:3], v[230:231], v[2:3]
	s_delay_alu instid0(VALU_DEP_2) | instskip(NEXT) | instid1(VALU_DEP_2)
	v_fma_f64 v[230:231], v[230:231], v[0:1], -v[4:5]
	v_fma_f64 v[232:233], v[232:233], v[0:1], v[2:3]
	global_load_b128 v[0:3], v6, s[0:1] offset:12480
	s_wait_loadcnt_dscnt 0x1
	v_mul_f64_e32 v[4:5], v[239:240], v[2:3]
	v_mul_f64_e32 v[2:3], v[237:238], v[2:3]
	s_delay_alu instid0(VALU_DEP_2) | instskip(NEXT) | instid1(VALU_DEP_2)
	v_fma_f64 v[237:238], v[237:238], v[0:1], -v[4:5]
	v_fma_f64 v[239:240], v[239:240], v[0:1], v[2:3]
	global_load_b128 v[0:3], v6, s[0:1] offset:6240
	s_wait_loadcnt 0x0
	v_mul_f64_e32 v[4:5], v[243:244], v[2:3]
	v_mul_f64_e32 v[2:3], v[241:242], v[2:3]
	s_delay_alu instid0(VALU_DEP_2) | instskip(NEXT) | instid1(VALU_DEP_2)
	v_fma_f64 v[241:242], v[241:242], v[0:1], -v[4:5]
	v_fma_f64 v[243:244], v[243:244], v[0:1], v[2:3]
	global_load_b128 v[0:3], v6, s[0:1] offset:13728
	s_wait_loadcnt_dscnt 0x0
	v_mul_f64_e32 v[4:5], v[247:248], v[2:3]
	v_mul_f64_e32 v[2:3], v[245:246], v[2:3]
	s_delay_alu instid0(VALU_DEP_2) | instskip(NEXT) | instid1(VALU_DEP_2)
	v_fma_f64 v[245:246], v[245:246], v[0:1], -v[4:5]
	v_fma_f64 v[247:248], v[247:248], v[0:1], v[2:3]
	ds_store_b128 v12, v[192:195]
	ds_store_b128 v12, v[200:203] offset:1248
	ds_store_b128 v12, v[196:199] offset:7488
	;; [unrolled: 1-line block ×11, first 2 shown]
	global_wb scope:SCOPE_SE
	s_wait_dscnt 0x0
	s_barrier_signal -1
	s_barrier_wait -1
	global_inv scope:SCOPE_SE
	ds_load_b128 v[0:3], v12 offset:7488
	ds_load_b128 v[192:195], v12
	v_lshl_add_u32 v4, v255, 5, v13
	ds_load_b128 v[196:199], v12 offset:1248
	ds_load_b128 v[200:203], v12 offset:8736
	;; [unrolled: 1-line block ×10, first 2 shown]
	global_wb scope:SCOPE_SE
	s_wait_dscnt 0x0
	s_barrier_signal -1
	s_barrier_wait -1
	global_inv scope:SCOPE_SE
	v_add_f64_e64 v[0:1], v[192:193], -v[0:1]
	v_add_f64_e64 v[2:3], v[194:195], -v[2:3]
	s_delay_alu instid0(VALU_DEP_2) | instskip(NEXT) | instid1(VALU_DEP_2)
	v_fma_f64 v[192:193], v[192:193], 2.0, -v[0:1]
	v_fma_f64 v[194:195], v[194:195], 2.0, -v[2:3]
	ds_store_b128 v4, v[0:3] offset:16
	ds_store_b128 v4, v[192:195]
	scratch_load_b32 v4, off, off offset:192 th:TH_LOAD_LU ; 4-byte Folded Reload
	v_add_f64_e64 v[0:1], v[196:197], -v[200:201]
	v_add_f64_e64 v[2:3], v[198:199], -v[202:203]
	s_delay_alu instid0(VALU_DEP_2) | instskip(NEXT) | instid1(VALU_DEP_2)
	v_fma_f64 v[192:193], v[196:197], 2.0, -v[0:1]
	v_fma_f64 v[194:195], v[198:199], 2.0, -v[2:3]
	s_wait_loadcnt 0x0
	ds_store_b128 v4, v[192:195]
	ds_store_b128 v4, v[0:3] offset:16
	v_add_f64_e64 v[0:1], v[208:209], -v[204:205]
	v_add_f64_e64 v[2:3], v[210:211], -v[206:207]
	s_delay_alu instid0(VALU_DEP_2) | instskip(NEXT) | instid1(VALU_DEP_2)
	v_fma_f64 v[192:193], v[208:209], 2.0, -v[0:1]
	v_fma_f64 v[194:195], v[210:211], 2.0, -v[2:3]
	ds_store_b128 v229, v[192:195]
	ds_store_b128 v229, v[0:3] offset:16
	v_add_f64_e64 v[0:1], v[212:213], -v[216:217]
	v_add_f64_e64 v[2:3], v[214:215], -v[218:219]
	s_delay_alu instid0(VALU_DEP_2) | instskip(NEXT) | instid1(VALU_DEP_2)
	v_fma_f64 v[192:193], v[212:213], 2.0, -v[0:1]
	v_fma_f64 v[194:195], v[214:215], 2.0, -v[2:3]
	;; [unrolled: 7-line block ×4, first 2 shown]
	ds_store_b128 v226, v[192:195]
	ds_store_b128 v226, v[0:3] offset:16
	global_wb scope:SCOPE_SE
	s_wait_dscnt 0x0
	s_barrier_signal -1
	s_barrier_wait -1
	global_inv scope:SCOPE_SE
	ds_load_b128 v[0:3], v12 offset:7488
	s_wait_dscnt 0x0
	v_mul_f64_e32 v[4:5], v[58:59], v[2:3]
	s_delay_alu instid0(VALU_DEP_1) | instskip(SKIP_1) | instid1(VALU_DEP_1)
	v_fma_f64 v[4:5], v[56:57], v[0:1], v[4:5]
	v_mul_f64_e32 v[0:1], v[58:59], v[0:1]
	v_fma_f64 v[6:7], v[56:57], v[2:3], -v[0:1]
	ds_load_b128 v[0:3], v12 offset:8736
	s_wait_dscnt 0x0
	v_mul_f64_e32 v[8:9], v[58:59], v[2:3]
	s_delay_alu instid0(VALU_DEP_1) | instskip(SKIP_1) | instid1(VALU_DEP_1)
	v_fma_f64 v[8:9], v[56:57], v[0:1], v[8:9]
	v_mul_f64_e32 v[0:1], v[58:59], v[0:1]
	v_fma_f64 v[10:11], v[56:57], v[2:3], -v[0:1]
	;; [unrolled: 7-line block ×6, first 2 shown]
	ds_load_b128 v[0:3], v12
	s_wait_dscnt 0x0
	v_add_f64_e64 v[192:193], v[0:1], -v[4:5]
	v_add_f64_e64 v[194:195], v[2:3], -v[6:7]
	s_delay_alu instid0(VALU_DEP_2) | instskip(NEXT) | instid1(VALU_DEP_2)
	v_fma_f64 v[56:57], v[0:1], 2.0, -v[192:193]
	v_fma_f64 v[58:59], v[2:3], 2.0, -v[194:195]
	ds_load_b128 v[0:3], v12 offset:1248
	s_wait_dscnt 0x0
	v_add_f64_e64 v[200:201], v[0:1], -v[8:9]
	v_add_f64_e64 v[202:203], v[2:3], -v[10:11]
	s_delay_alu instid0(VALU_DEP_2) | instskip(NEXT) | instid1(VALU_DEP_2)
	v_fma_f64 v[196:197], v[0:1], 2.0, -v[200:201]
	v_fma_f64 v[198:199], v[2:3], 2.0, -v[202:203]
	ds_load_b128 v[0:3], v12 offset:2496
	;; [unrolled: 7-line block ×5, first 2 shown]
	global_wb scope:SCOPE_SE
	s_wait_dscnt 0x0
	s_barrier_signal -1
	s_barrier_wait -1
	global_inv scope:SCOPE_SE
	v_add_f64_e64 v[212:213], v[0:1], -v[28:29]
	v_add_f64_e64 v[214:215], v[2:3], -v[30:31]
	s_delay_alu instid0(VALU_DEP_2) | instskip(NEXT) | instid1(VALU_DEP_2)
	v_fma_f64 v[220:221], v[0:1], 2.0, -v[212:213]
	v_fma_f64 v[222:223], v[2:3], 2.0, -v[214:215]
	ds_store_b128 v254, v[192:195] offset:32
	ds_store_b128 v254, v[56:59]
	ds_store_b128 v253, v[196:199]
	ds_store_b128 v253, v[200:203] offset:32
	ds_store_b128 v252, v[204:207]
	ds_store_b128 v252, v[208:211] offset:32
	;; [unrolled: 2-line block ×5, first 2 shown]
	global_wb scope:SCOPE_SE
	s_wait_dscnt 0x0
	s_barrier_signal -1
	s_barrier_wait -1
	global_inv scope:SCOPE_SE
	s_and_saveexec_b32 s0, vcc_lo
	s_cbranch_execz .LBB0_7
; %bb.6:
	ds_load_b128 v[56:59], v12
	ds_load_b128 v[192:195], v12 offset:1152
	ds_load_b128 v[196:199], v12 offset:2304
	;; [unrolled: 1-line block ×12, first 2 shown]
.LBB0_7:
	s_wait_alu 0xfffe
	s_or_b32 exec_lo, exec_lo, s0
	v_add_nc_u32_e32 v238, 0x9c0, v12
	v_add_nc_u32_e32 v237, 0xea0, v12
	global_wb scope:SCOPE_SE
	s_wait_dscnt 0x0
	s_barrier_signal -1
	s_barrier_wait -1
	global_inv scope:SCOPE_SE
	s_and_saveexec_b32 s33, vcc_lo
	s_cbranch_execz .LBB0_9
; %bb.8:
	v_mul_f64_e32 v[0:1], v[150:151], v[230:231]
	s_mov_b32 s16, 0x4bc48dbf
	s_mov_b32 s17, 0xbfcea1e5
	;; [unrolled: 1-line block ×16, first 2 shown]
	v_dual_mov_b32 v44, v237 :: v_dual_mov_b32 v45, v238
	s_mov_b32 s20, 0x2ef20147
	s_mov_b32 s21, 0xbfedeba7
	;; [unrolled: 1-line block ×9, first 2 shown]
	s_wait_alu 0xfffe
	s_mov_b32 s22, s34
	s_mov_b32 s39, 0x3fcea1e5
	;; [unrolled: 1-line block ×7, first 2 shown]
	s_delay_alu instid0(VALU_DEP_2) | instskip(SKIP_1) | instid1(VALU_DEP_1)
	v_fma_f64 v[243:244], v[148:149], v[228:229], v[0:1]
	v_mul_f64_e32 v[0:1], v[150:151], v[228:229]
	v_fma_f64 v[228:229], v[148:149], v[230:231], -v[0:1]
	v_mul_f64_e32 v[0:1], v[154:155], v[234:235]
	s_delay_alu instid0(VALU_DEP_1) | instskip(SKIP_1) | instid1(VALU_DEP_1)
	v_fma_f64 v[42:43], v[152:153], v[232:233], v[0:1]
	v_mul_f64_e32 v[0:1], v[154:155], v[232:233]
	v_fma_f64 v[230:231], v[152:153], v[234:235], -v[0:1]
	v_mul_f64_e32 v[0:1], v[114:115], v[210:211]
	s_delay_alu instid0(VALU_DEP_2) | instskip(NEXT) | instid1(VALU_DEP_2)
	v_add_f64_e64 v[247:248], v[228:229], -v[230:231]
	v_fma_f64 v[232:233], v[112:113], v[208:209], v[0:1]
	v_mul_f64_e32 v[0:1], v[114:115], v[208:209]
	s_delay_alu instid0(VALU_DEP_1) | instskip(SKIP_1) | instid1(VALU_DEP_1)
	v_fma_f64 v[234:235], v[112:113], v[210:211], -v[0:1]
	v_mul_f64_e32 v[0:1], v[122:123], v[226:227]
	v_fma_f64 v[208:209], v[120:121], v[224:225], v[0:1]
	v_mul_f64_e32 v[0:1], v[122:123], v[224:225]
	s_delay_alu instid0(VALU_DEP_2) | instskip(NEXT) | instid1(VALU_DEP_2)
	v_add_f64_e64 v[245:246], v[232:233], -v[208:209]
	v_fma_f64 v[210:211], v[120:121], v[226:227], -v[0:1]
	v_mul_f64_e32 v[0:1], v[102:103], v[206:207]
	s_delay_alu instid0(VALU_DEP_2) | instskip(NEXT) | instid1(VALU_DEP_2)
	v_add_f64_e64 v[241:242], v[234:235], -v[210:211]
	v_fma_f64 v[224:225], v[100:101], v[204:205], v[0:1]
	v_mul_f64_e32 v[0:1], v[102:103], v[204:205]
	s_delay_alu instid0(VALU_DEP_1) | instskip(SKIP_1) | instid1(VALU_DEP_1)
	v_fma_f64 v[226:227], v[100:101], v[206:207], -v[0:1]
	v_mul_f64_e32 v[0:1], v[110:111], v[218:219]
	v_fma_f64 v[36:37], v[108:109], v[216:217], v[0:1]
	v_mul_f64_e32 v[0:1], v[110:111], v[216:217]
	v_add_f64_e32 v[216:217], v[228:229], v[230:231]
	s_delay_alu instid0(VALU_DEP_3) | instskip(NEXT) | instid1(VALU_DEP_3)
	v_add_f64_e64 v[239:240], v[224:225], -v[36:37]
	v_fma_f64 v[204:205], v[108:109], v[218:219], -v[0:1]
	v_mul_f64_e32 v[0:1], v[94:95], v[202:203]
	v_add_f64_e32 v[206:207], v[224:225], v[36:37]
	s_delay_alu instid0(VALU_DEP_3) | instskip(NEXT) | instid1(VALU_DEP_3)
	v_add_f64_e64 v[237:238], v[226:227], -v[204:205]
	v_fma_f64 v[150:151], v[92:93], v[200:201], v[0:1]
	v_mul_f64_e32 v[0:1], v[94:95], v[200:201]
	s_delay_alu instid0(VALU_DEP_1) | instskip(SKIP_2) | instid1(VALU_DEP_2)
	v_fma_f64 v[148:149], v[92:93], v[202:203], -v[0:1]
	v_mul_f64_e32 v[0:1], v[98:99], v[222:223]
	v_add_f64_e32 v[202:203], v[226:227], v[204:205]
	v_fma_f64 v[32:33], v[96:97], v[220:221], v[0:1]
	v_mul_f64_e32 v[0:1], v[98:99], v[220:221]
	scratch_store_b64 off, v[32:33], off offset:192 ; 8-byte Folded Spill
	v_fma_f64 v[200:201], v[96:97], v[222:223], -v[0:1]
	v_mul_f64_e32 v[0:1], v[86:87], v[198:199]
	s_delay_alu instid0(VALU_DEP_2) | instskip(NEXT) | instid1(VALU_DEP_2)
	v_add_f64_e64 v[253:254], v[148:149], -v[200:201]
	v_fma_f64 v[220:221], v[84:85], v[196:197], v[0:1]
	v_mul_f64_e32 v[0:1], v[86:87], v[196:197]
	v_add_f64_e32 v[196:197], v[148:149], v[200:201]
	s_delay_alu instid0(VALU_DEP_2) | instskip(SKIP_2) | instid1(VALU_DEP_2)
	v_fma_f64 v[222:223], v[84:85], v[198:199], -v[0:1]
	v_mul_f64_e32 v[0:1], v[90:91], v[214:215]
	v_add_f64_e32 v[198:199], v[150:151], v[32:33]
	v_fma_f64 v[46:47], v[88:89], v[212:213], v[0:1]
	v_mul_f64_e32 v[0:1], v[90:91], v[212:213]
	v_add_f64_e32 v[212:213], v[234:235], v[210:211]
	s_delay_alu instid0(VALU_DEP_3) | instskip(NEXT) | instid1(VALU_DEP_3)
	v_add_f64_e64 v[249:250], v[220:221], -v[46:47]
	v_fma_f64 v[86:87], v[88:89], v[214:215], -v[0:1]
	v_mul_f64_e32 v[0:1], v[50:51], v[194:195]
	v_add_f64_e32 v[214:215], v[232:233], v[208:209]
	s_delay_alu instid0(VALU_DEP_4) | instskip(NEXT) | instid1(VALU_DEP_4)
	v_mul_f64_e32 v[18:19], s[28:29], v[249:250]
	v_add_f64_e64 v[251:252], v[222:223], -v[86:87]
	s_delay_alu instid0(VALU_DEP_4)
	v_fma_f64 v[84:85], v[48:49], v[192:193], v[0:1]
	v_mul_f64_e32 v[0:1], v[50:51], v[192:193]
	v_dual_mov_b32 v50, v243 :: v_dual_mov_b32 v51, v244
	scratch_store_b64 off, v[50:51], off offset:256 ; 8-byte Folded Spill
	v_mul_f64_e32 v[24:25], s[28:29], v[251:252]
	v_fma_f64 v[2:3], v[48:49], v[194:195], -v[0:1]
	v_mul_f64_e32 v[0:1], v[70:71], v[162:163]
	v_add_f64_e32 v[194:195], v[220:221], v[46:47]
	v_dual_mov_b32 v49, v43 :: v_dual_mov_b32 v48, v42
	s_clause 0x1
	scratch_store_b64 off, v[36:37], off offset:240
	scratch_store_b64 off, v[48:49], off offset:248
	v_add_f64_e64 v[243:244], v[50:51], -v[48:49]
	v_add_f64_e32 v[218:219], v[50:51], v[48:49]
	v_fma_f64 v[192:193], v[68:69], v[160:161], v[0:1]
	v_mul_f64_e32 v[0:1], v[70:71], v[160:161]
	v_add_f64_e32 v[160:161], v[222:223], v[86:87]
	v_fma_f64 v[26:27], v[194:195], s[26:27], -v[24:25]
	s_delay_alu instid0(VALU_DEP_4) | instskip(NEXT) | instid1(VALU_DEP_4)
	v_add_f64_e64 v[6:7], v[84:85], -v[192:193]
	v_fma_f64 v[162:163], v[68:69], v[162:163], -v[0:1]
	s_delay_alu instid0(VALU_DEP_4) | instskip(SKIP_1) | instid1(VALU_DEP_4)
	v_fma_f64 v[8:9], v[160:161], s[26:27], v[18:19]
	v_fma_f64 v[18:19], v[160:161], s[26:27], -v[18:19]
	v_mul_f64_e32 v[16:17], s[16:17], v[6:7]
	s_delay_alu instid0(VALU_DEP_4) | instskip(SKIP_2) | instid1(VALU_DEP_3)
	v_add_f64_e32 v[4:5], v[2:3], v[162:163]
	v_add_f64_e64 v[10:11], v[2:3], -v[162:163]
	v_add_f64_e32 v[2:3], v[58:59], v[2:3]
	v_fma_f64 v[0:1], v[4:5], s[0:1], v[16:17]
	s_delay_alu instid0(VALU_DEP_3) | instskip(SKIP_1) | instid1(VALU_DEP_3)
	v_mul_f64_e32 v[22:23], s[16:17], v[10:11]
	v_fma_f64 v[16:17], v[4:5], s[0:1], -v[16:17]
	v_add_f64_e32 v[0:1], v[58:59], v[0:1]
	s_delay_alu instid0(VALU_DEP_2) | instskip(NEXT) | instid1(VALU_DEP_2)
	v_add_f64_e32 v[16:17], v[58:59], v[16:17]
	v_add_f64_e32 v[20:21], v[8:9], v[0:1]
	;; [unrolled: 1-line block ×3, first 2 shown]
	s_delay_alu instid0(VALU_DEP_3) | instskip(NEXT) | instid1(VALU_DEP_2)
	v_add_f64_e32 v[16:17], v[18:19], v[16:17]
	v_fma_f64 v[0:1], v[8:9], s[0:1], -v[22:23]
	v_fma_f64 v[18:19], v[8:9], s[0:1], v[22:23]
	v_fma_f64 v[22:23], v[194:195], s[26:27], v[24:25]
	s_delay_alu instid0(VALU_DEP_3) | instskip(NEXT) | instid1(VALU_DEP_3)
	v_add_f64_e32 v[0:1], v[56:57], v[0:1]
	v_add_f64_e32 v[18:19], v[56:57], v[18:19]
	s_delay_alu instid0(VALU_DEP_2) | instskip(SKIP_1) | instid1(VALU_DEP_3)
	v_add_f64_e32 v[26:27], v[26:27], v[0:1]
	v_add_f64_e64 v[0:1], v[150:151], -v[32:33]
	v_add_f64_e32 v[18:19], v[22:23], v[18:19]
	s_delay_alu instid0(VALU_DEP_2) | instskip(NEXT) | instid1(VALU_DEP_1)
	v_mul_f64_e32 v[28:29], s[18:19], v[0:1]
	v_fma_f64 v[30:31], v[196:197], s[8:9], v[28:29]
	v_fma_f64 v[22:23], v[196:197], s[8:9], -v[28:29]
	s_delay_alu instid0(VALU_DEP_2) | instskip(SKIP_1) | instid1(VALU_DEP_3)
	v_add_f64_e32 v[20:21], v[30:31], v[20:21]
	v_mul_f64_e32 v[30:31], s[18:19], v[253:254]
	v_add_f64_e32 v[16:17], v[22:23], v[16:17]
	s_delay_alu instid0(VALU_DEP_2) | instskip(SKIP_1) | instid1(VALU_DEP_2)
	v_fma_f64 v[32:33], v[198:199], s[8:9], -v[30:31]
	v_fma_f64 v[22:23], v[198:199], s[8:9], v[30:31]
	v_add_f64_e32 v[26:27], v[32:33], v[26:27]
	v_mul_f64_e32 v[32:33], s[34:35], v[239:240]
	s_delay_alu instid0(VALU_DEP_3) | instskip(NEXT) | instid1(VALU_DEP_2)
	v_add_f64_e32 v[18:19], v[22:23], v[18:19]
	v_fma_f64 v[34:35], v[202:203], s[10:11], v[32:33]
	v_fma_f64 v[22:23], v[202:203], s[10:11], -v[32:33]
	s_delay_alu instid0(VALU_DEP_2) | instskip(SKIP_1) | instid1(VALU_DEP_3)
	v_add_f64_e32 v[20:21], v[34:35], v[20:21]
	v_mul_f64_e32 v[34:35], s[34:35], v[237:238]
	v_add_f64_e32 v[16:17], v[22:23], v[16:17]
	s_delay_alu instid0(VALU_DEP_2) | instskip(SKIP_1) | instid1(VALU_DEP_2)
	v_fma_f64 v[36:37], v[206:207], s[10:11], -v[34:35]
	v_fma_f64 v[22:23], v[206:207], s[10:11], v[34:35]
	v_add_f64_e32 v[26:27], v[36:37], v[26:27]
	v_mul_f64_e32 v[36:37], s[20:21], v[245:246]
	s_delay_alu instid0(VALU_DEP_3) | instskip(NEXT) | instid1(VALU_DEP_2)
	v_add_f64_e32 v[18:19], v[22:23], v[18:19]
	;; [unrolled: 13-line block ×3, first 2 shown]
	v_fma_f64 v[42:43], v[216:217], s[14:15], v[40:41]
	v_fma_f64 v[22:23], v[216:217], s[14:15], -v[40:41]
	s_delay_alu instid0(VALU_DEP_2) | instskip(SKIP_1) | instid1(VALU_DEP_3)
	v_add_f64_e32 v[154:155], v[42:43], v[20:21]
	v_mul_f64_e32 v[20:21], s[30:31], v[247:248]
	v_add_f64_e32 v[70:71], v[22:23], v[16:17]
	v_mul_f64_e32 v[16:17], s[18:19], v[6:7]
	s_delay_alu instid0(VALU_DEP_3) | instskip(SKIP_1) | instid1(VALU_DEP_2)
	v_fma_f64 v[42:43], v[218:219], s[14:15], -v[20:21]
	v_fma_f64 v[20:21], v[218:219], s[14:15], v[20:21]
	v_add_f64_e32 v[152:153], v[42:43], v[26:27]
	s_delay_alu instid0(VALU_DEP_2) | instskip(SKIP_4) | instid1(VALU_DEP_4)
	v_add_f64_e32 v[68:69], v[20:21], v[18:19]
	v_fma_f64 v[18:19], v[4:5], s[8:9], v[16:17]
	v_mul_f64_e32 v[20:21], s[30:31], v[249:250]
	v_mul_f64_e32 v[26:27], s[30:31], v[251:252]
	v_fma_f64 v[16:17], v[4:5], s[8:9], -v[16:17]
	v_add_f64_e32 v[18:19], v[58:59], v[18:19]
	s_delay_alu instid0(VALU_DEP_4) | instskip(NEXT) | instid1(VALU_DEP_4)
	v_fma_f64 v[22:23], v[160:161], s[14:15], v[20:21]
	v_fma_f64 v[28:29], v[194:195], s[14:15], -v[26:27]
	v_fma_f64 v[20:21], v[160:161], s[14:15], -v[20:21]
	v_add_f64_e32 v[16:17], v[58:59], v[16:17]
	s_delay_alu instid0(VALU_DEP_4) | instskip(SKIP_1) | instid1(VALU_DEP_3)
	v_add_f64_e32 v[18:19], v[22:23], v[18:19]
	v_mul_f64_e32 v[22:23], s[18:19], v[10:11]
	v_add_f64_e32 v[16:17], v[20:21], v[16:17]
	s_delay_alu instid0(VALU_DEP_2) | instskip(SKIP_4) | instid1(VALU_DEP_4)
	v_fma_f64 v[24:25], v[8:9], s[8:9], -v[22:23]
	v_fma_f64 v[20:21], v[8:9], s[8:9], v[22:23]
	v_fma_f64 v[22:23], v[194:195], s[14:15], v[26:27]
	s_wait_alu 0xfffe
	v_mul_f64_e32 v[26:27], s[36:37], v[251:252]
	v_add_f64_e32 v[24:25], v[56:57], v[24:25]
	s_delay_alu instid0(VALU_DEP_4) | instskip(NEXT) | instid1(VALU_DEP_2)
	v_add_f64_e32 v[20:21], v[56:57], v[20:21]
	v_add_f64_e32 v[24:25], v[28:29], v[24:25]
	v_mul_f64_e32 v[28:29], s[22:23], v[0:1]
	s_delay_alu instid0(VALU_DEP_3) | instskip(NEXT) | instid1(VALU_DEP_2)
	v_add_f64_e32 v[20:21], v[22:23], v[20:21]
	v_fma_f64 v[30:31], v[196:197], s[10:11], v[28:29]
	v_fma_f64 v[22:23], v[196:197], s[10:11], -v[28:29]
	v_fma_f64 v[28:29], v[194:195], s[8:9], -v[26:27]
	s_delay_alu instid0(VALU_DEP_3) | instskip(SKIP_1) | instid1(VALU_DEP_4)
	v_add_f64_e32 v[18:19], v[30:31], v[18:19]
	v_mul_f64_e32 v[30:31], s[22:23], v[253:254]
	v_add_f64_e32 v[16:17], v[22:23], v[16:17]
	s_delay_alu instid0(VALU_DEP_2) | instskip(SKIP_1) | instid1(VALU_DEP_2)
	v_fma_f64 v[32:33], v[198:199], s[10:11], -v[30:31]
	v_fma_f64 v[22:23], v[198:199], s[10:11], v[30:31]
	v_add_f64_e32 v[24:25], v[32:33], v[24:25]
	v_mul_f64_e32 v[32:33], s[38:39], v[239:240]
	s_delay_alu instid0(VALU_DEP_3) | instskip(NEXT) | instid1(VALU_DEP_2)
	v_add_f64_e32 v[20:21], v[22:23], v[20:21]
	v_fma_f64 v[34:35], v[202:203], s[0:1], v[32:33]
	v_fma_f64 v[22:23], v[202:203], s[0:1], -v[32:33]
	s_delay_alu instid0(VALU_DEP_2) | instskip(SKIP_1) | instid1(VALU_DEP_3)
	v_add_f64_e32 v[18:19], v[34:35], v[18:19]
	v_mul_f64_e32 v[34:35], s[38:39], v[237:238]
	v_add_f64_e32 v[16:17], v[22:23], v[16:17]
	s_delay_alu instid0(VALU_DEP_2) | instskip(SKIP_1) | instid1(VALU_DEP_2)
	v_fma_f64 v[36:37], v[206:207], s[0:1], -v[34:35]
	v_fma_f64 v[22:23], v[206:207], s[0:1], v[34:35]
	v_add_f64_e32 v[24:25], v[36:37], v[24:25]
	v_mul_f64_e32 v[36:37], s[28:29], v[245:246]
	s_delay_alu instid0(VALU_DEP_3) | instskip(NEXT) | instid1(VALU_DEP_2)
	v_add_f64_e32 v[20:21], v[22:23], v[20:21]
	v_fma_f64 v[38:39], v[212:213], s[26:27], v[36:37]
	v_fma_f64 v[22:23], v[212:213], s[26:27], -v[36:37]
	s_delay_alu instid0(VALU_DEP_2) | instskip(SKIP_1) | instid1(VALU_DEP_3)
	v_add_f64_e32 v[18:19], v[38:39], v[18:19]
	v_mul_f64_e32 v[38:39], s[28:29], v[241:242]
	v_add_f64_e32 v[16:17], v[22:23], v[16:17]
	s_delay_alu instid0(VALU_DEP_2) | instskip(SKIP_1) | instid1(VALU_DEP_2)
	v_fma_f64 v[40:41], v[214:215], s[26:27], -v[38:39]
	v_fma_f64 v[22:23], v[214:215], s[26:27], v[38:39]
	v_add_f64_e32 v[24:25], v[40:41], v[24:25]
	v_mul_f64_e32 v[40:41], s[20:21], v[243:244]
	s_delay_alu instid0(VALU_DEP_3) | instskip(NEXT) | instid1(VALU_DEP_2)
	v_add_f64_e32 v[20:21], v[22:23], v[20:21]
	v_fma_f64 v[42:43], v[216:217], s[12:13], v[40:41]
	v_fma_f64 v[22:23], v[216:217], s[12:13], -v[40:41]
	s_delay_alu instid0(VALU_DEP_2) | instskip(SKIP_1) | instid1(VALU_DEP_3)
	v_add_f64_e32 v[50:51], v[42:43], v[18:19]
	v_mul_f64_e32 v[18:19], s[20:21], v[247:248]
	v_add_f64_e32 v[90:91], v[22:23], v[16:17]
	v_mul_f64_e32 v[16:17], s[20:21], v[6:7]
	s_delay_alu instid0(VALU_DEP_3) | instskip(SKIP_1) | instid1(VALU_DEP_2)
	v_fma_f64 v[42:43], v[218:219], s[12:13], -v[18:19]
	v_fma_f64 v[18:19], v[218:219], s[12:13], v[18:19]
	v_add_f64_e32 v[48:49], v[42:43], v[24:25]
	s_delay_alu instid0(VALU_DEP_2) | instskip(SKIP_3) | instid1(VALU_DEP_3)
	v_add_f64_e32 v[88:89], v[18:19], v[20:21]
	v_fma_f64 v[18:19], v[4:5], s[12:13], v[16:17]
	v_mul_f64_e32 v[20:21], s[36:37], v[249:250]
	v_fma_f64 v[16:17], v[4:5], s[12:13], -v[16:17]
	v_add_f64_e32 v[18:19], v[58:59], v[18:19]
	s_delay_alu instid0(VALU_DEP_3) | instskip(SKIP_1) | instid1(VALU_DEP_4)
	v_fma_f64 v[22:23], v[160:161], s[8:9], v[20:21]
	v_fma_f64 v[20:21], v[160:161], s[8:9], -v[20:21]
	v_add_f64_e32 v[16:17], v[58:59], v[16:17]
	s_delay_alu instid0(VALU_DEP_3) | instskip(SKIP_1) | instid1(VALU_DEP_3)
	v_add_f64_e32 v[18:19], v[22:23], v[18:19]
	v_mul_f64_e32 v[22:23], s[20:21], v[10:11]
	v_add_f64_e32 v[16:17], v[20:21], v[16:17]
	s_delay_alu instid0(VALU_DEP_2) | instskip(SKIP_3) | instid1(VALU_DEP_4)
	v_fma_f64 v[24:25], v[8:9], s[12:13], -v[22:23]
	v_fma_f64 v[20:21], v[8:9], s[12:13], v[22:23]
	v_fma_f64 v[22:23], v[194:195], s[8:9], v[26:27]
	v_mul_f64_e32 v[26:27], s[16:17], v[251:252]
	v_add_f64_e32 v[24:25], v[56:57], v[24:25]
	s_delay_alu instid0(VALU_DEP_4) | instskip(NEXT) | instid1(VALU_DEP_2)
	v_add_f64_e32 v[20:21], v[56:57], v[20:21]
	v_add_f64_e32 v[24:25], v[28:29], v[24:25]
	v_mul_f64_e32 v[28:29], s[28:29], v[0:1]
	s_delay_alu instid0(VALU_DEP_3) | instskip(NEXT) | instid1(VALU_DEP_2)
	v_add_f64_e32 v[20:21], v[22:23], v[20:21]
	v_fma_f64 v[30:31], v[196:197], s[26:27], v[28:29]
	v_fma_f64 v[22:23], v[196:197], s[26:27], -v[28:29]
	v_fma_f64 v[28:29], v[194:195], s[0:1], -v[26:27]
	s_delay_alu instid0(VALU_DEP_3) | instskip(SKIP_1) | instid1(VALU_DEP_4)
	v_add_f64_e32 v[18:19], v[30:31], v[18:19]
	v_mul_f64_e32 v[30:31], s[28:29], v[253:254]
	v_add_f64_e32 v[16:17], v[22:23], v[16:17]
	s_delay_alu instid0(VALU_DEP_2) | instskip(SKIP_1) | instid1(VALU_DEP_2)
	v_fma_f64 v[32:33], v[198:199], s[26:27], -v[30:31]
	v_fma_f64 v[22:23], v[198:199], s[26:27], v[30:31]
	v_add_f64_e32 v[24:25], v[32:33], v[24:25]
	v_mul_f64_e32 v[32:33], s[24:25], v[239:240]
	s_delay_alu instid0(VALU_DEP_3) | instskip(NEXT) | instid1(VALU_DEP_2)
	v_add_f64_e32 v[20:21], v[22:23], v[20:21]
	v_fma_f64 v[34:35], v[202:203], s[14:15], v[32:33]
	v_fma_f64 v[22:23], v[202:203], s[14:15], -v[32:33]
	s_delay_alu instid0(VALU_DEP_2) | instskip(SKIP_1) | instid1(VALU_DEP_3)
	v_add_f64_e32 v[18:19], v[34:35], v[18:19]
	v_mul_f64_e32 v[34:35], s[24:25], v[237:238]
	v_add_f64_e32 v[16:17], v[22:23], v[16:17]
	s_delay_alu instid0(VALU_DEP_2) | instskip(SKIP_1) | instid1(VALU_DEP_2)
	v_fma_f64 v[36:37], v[206:207], s[14:15], -v[34:35]
	v_fma_f64 v[22:23], v[206:207], s[14:15], v[34:35]
	v_add_f64_e32 v[24:25], v[36:37], v[24:25]
	v_mul_f64_e32 v[36:37], s[38:39], v[245:246]
	s_delay_alu instid0(VALU_DEP_3) | instskip(NEXT) | instid1(VALU_DEP_2)
	v_add_f64_e32 v[20:21], v[22:23], v[20:21]
	v_fma_f64 v[38:39], v[212:213], s[0:1], v[36:37]
	v_fma_f64 v[22:23], v[212:213], s[0:1], -v[36:37]
	s_delay_alu instid0(VALU_DEP_2) | instskip(SKIP_1) | instid1(VALU_DEP_3)
	;; [unrolled: 13-line block ×3, first 2 shown]
	v_add_f64_e32 v[94:95], v[42:43], v[18:19]
	v_mul_f64_e32 v[18:19], s[34:35], v[247:248]
	v_add_f64_e32 v[98:99], v[22:23], v[16:17]
	v_mul_f64_e32 v[16:17], s[24:25], v[6:7]
	s_mov_b32 s35, 0x3fedeba7
	s_mov_b32 s34, s20
	s_delay_alu instid0(VALU_DEP_3) | instskip(SKIP_1) | instid1(VALU_DEP_2)
	v_fma_f64 v[42:43], v[218:219], s[10:11], -v[18:19]
	v_fma_f64 v[18:19], v[218:219], s[10:11], v[18:19]
	v_add_f64_e32 v[92:93], v[42:43], v[24:25]
	s_delay_alu instid0(VALU_DEP_2) | instskip(SKIP_3) | instid1(VALU_DEP_3)
	v_add_f64_e32 v[96:97], v[18:19], v[20:21]
	v_fma_f64 v[18:19], v[4:5], s[14:15], v[16:17]
	v_mul_f64_e32 v[20:21], s[16:17], v[249:250]
	v_fma_f64 v[16:17], v[4:5], s[14:15], -v[16:17]
	v_add_f64_e32 v[18:19], v[58:59], v[18:19]
	s_delay_alu instid0(VALU_DEP_3) | instskip(SKIP_1) | instid1(VALU_DEP_4)
	v_fma_f64 v[22:23], v[160:161], s[0:1], v[20:21]
	v_fma_f64 v[20:21], v[160:161], s[0:1], -v[20:21]
	v_add_f64_e32 v[16:17], v[58:59], v[16:17]
	s_delay_alu instid0(VALU_DEP_3) | instskip(SKIP_1) | instid1(VALU_DEP_3)
	v_add_f64_e32 v[18:19], v[22:23], v[18:19]
	v_mul_f64_e32 v[22:23], s[24:25], v[10:11]
	v_add_f64_e32 v[16:17], v[20:21], v[16:17]
	s_delay_alu instid0(VALU_DEP_2) | instskip(SKIP_3) | instid1(VALU_DEP_4)
	v_fma_f64 v[24:25], v[8:9], s[14:15], -v[22:23]
	v_fma_f64 v[20:21], v[8:9], s[14:15], v[22:23]
	v_fma_f64 v[22:23], v[194:195], s[0:1], v[26:27]
	v_mul_f64_e32 v[26:27], s[20:21], v[251:252]
	v_add_f64_e32 v[24:25], v[56:57], v[24:25]
	s_delay_alu instid0(VALU_DEP_4) | instskip(NEXT) | instid1(VALU_DEP_2)
	v_add_f64_e32 v[20:21], v[56:57], v[20:21]
	v_add_f64_e32 v[24:25], v[28:29], v[24:25]
	s_wait_alu 0xfffe
	v_mul_f64_e32 v[28:29], s[34:35], v[0:1]
	s_delay_alu instid0(VALU_DEP_3) | instskip(NEXT) | instid1(VALU_DEP_2)
	v_add_f64_e32 v[20:21], v[22:23], v[20:21]
	v_fma_f64 v[30:31], v[196:197], s[12:13], v[28:29]
	v_fma_f64 v[22:23], v[196:197], s[12:13], -v[28:29]
	v_fma_f64 v[28:29], v[194:195], s[12:13], -v[26:27]
	s_delay_alu instid0(VALU_DEP_3) | instskip(SKIP_1) | instid1(VALU_DEP_4)
	v_add_f64_e32 v[18:19], v[30:31], v[18:19]
	v_mul_f64_e32 v[30:31], s[34:35], v[253:254]
	v_add_f64_e32 v[16:17], v[22:23], v[16:17]
	s_delay_alu instid0(VALU_DEP_2) | instskip(SKIP_1) | instid1(VALU_DEP_2)
	v_fma_f64 v[32:33], v[198:199], s[12:13], -v[30:31]
	v_fma_f64 v[22:23], v[198:199], s[12:13], v[30:31]
	v_add_f64_e32 v[24:25], v[32:33], v[24:25]
	v_mul_f64_e32 v[32:33], s[28:29], v[239:240]
	s_delay_alu instid0(VALU_DEP_3) | instskip(NEXT) | instid1(VALU_DEP_2)
	v_add_f64_e32 v[20:21], v[22:23], v[20:21]
	v_fma_f64 v[34:35], v[202:203], s[26:27], v[32:33]
	v_fma_f64 v[22:23], v[202:203], s[26:27], -v[32:33]
	s_delay_alu instid0(VALU_DEP_2) | instskip(SKIP_1) | instid1(VALU_DEP_3)
	v_add_f64_e32 v[18:19], v[34:35], v[18:19]
	v_mul_f64_e32 v[34:35], s[28:29], v[237:238]
	v_add_f64_e32 v[16:17], v[22:23], v[16:17]
	s_delay_alu instid0(VALU_DEP_2) | instskip(SKIP_1) | instid1(VALU_DEP_2)
	v_fma_f64 v[36:37], v[206:207], s[26:27], -v[34:35]
	v_fma_f64 v[22:23], v[206:207], s[26:27], v[34:35]
	v_add_f64_e32 v[24:25], v[36:37], v[24:25]
	v_mul_f64_e32 v[36:37], s[22:23], v[245:246]
	s_delay_alu instid0(VALU_DEP_3) | instskip(NEXT) | instid1(VALU_DEP_2)
	v_add_f64_e32 v[20:21], v[22:23], v[20:21]
	v_fma_f64 v[38:39], v[212:213], s[10:11], v[36:37]
	v_fma_f64 v[22:23], v[212:213], s[10:11], -v[36:37]
	s_delay_alu instid0(VALU_DEP_2) | instskip(SKIP_1) | instid1(VALU_DEP_3)
	;; [unrolled: 13-line block ×3, first 2 shown]
	v_add_f64_e32 v[102:103], v[42:43], v[18:19]
	v_mul_f64_e32 v[18:19], s[18:19], v[247:248]
	v_add_f64_e32 v[110:111], v[22:23], v[16:17]
	v_mul_f64_e32 v[16:17], s[22:23], v[6:7]
	s_delay_alu instid0(VALU_DEP_3) | instskip(SKIP_1) | instid1(VALU_DEP_2)
	v_fma_f64 v[42:43], v[218:219], s[8:9], -v[18:19]
	v_fma_f64 v[18:19], v[218:219], s[8:9], v[18:19]
	v_add_f64_e32 v[100:101], v[42:43], v[24:25]
	s_delay_alu instid0(VALU_DEP_2) | instskip(SKIP_3) | instid1(VALU_DEP_3)
	v_add_f64_e32 v[108:109], v[18:19], v[20:21]
	v_fma_f64 v[18:19], v[4:5], s[10:11], v[16:17]
	v_mul_f64_e32 v[20:21], s[20:21], v[249:250]
	v_fma_f64 v[16:17], v[4:5], s[10:11], -v[16:17]
	v_add_f64_e32 v[18:19], v[58:59], v[18:19]
	s_delay_alu instid0(VALU_DEP_3) | instskip(SKIP_1) | instid1(VALU_DEP_4)
	v_fma_f64 v[22:23], v[160:161], s[12:13], v[20:21]
	v_fma_f64 v[20:21], v[160:161], s[12:13], -v[20:21]
	v_add_f64_e32 v[16:17], v[58:59], v[16:17]
	s_delay_alu instid0(VALU_DEP_3) | instskip(SKIP_1) | instid1(VALU_DEP_3)
	v_add_f64_e32 v[18:19], v[22:23], v[18:19]
	v_mul_f64_e32 v[22:23], s[22:23], v[10:11]
	v_add_f64_e32 v[16:17], v[20:21], v[16:17]
	s_delay_alu instid0(VALU_DEP_2) | instskip(NEXT) | instid1(VALU_DEP_1)
	v_fma_f64 v[24:25], v[8:9], s[10:11], -v[22:23]
	v_add_f64_e32 v[24:25], v[56:57], v[24:25]
	s_delay_alu instid0(VALU_DEP_1) | instskip(SKIP_1) | instid1(VALU_DEP_1)
	v_add_f64_e32 v[24:25], v[28:29], v[24:25]
	v_mul_f64_e32 v[28:29], s[16:17], v[0:1]
	v_fma_f64 v[30:31], v[196:197], s[0:1], v[28:29]
	v_fma_f64 v[20:21], v[196:197], s[0:1], -v[28:29]
	s_delay_alu instid0(VALU_DEP_2) | instskip(SKIP_1) | instid1(VALU_DEP_3)
	v_add_f64_e32 v[18:19], v[30:31], v[18:19]
	v_mul_f64_e32 v[30:31], s[16:17], v[253:254]
	v_add_f64_e32 v[16:17], v[20:21], v[16:17]
	s_delay_alu instid0(VALU_DEP_2) | instskip(NEXT) | instid1(VALU_DEP_1)
	v_fma_f64 v[32:33], v[198:199], s[0:1], -v[30:31]
	v_add_f64_e32 v[24:25], v[32:33], v[24:25]
	v_mul_f64_e32 v[32:33], s[36:37], v[239:240]
	s_delay_alu instid0(VALU_DEP_1) | instskip(SKIP_1) | instid1(VALU_DEP_2)
	v_fma_f64 v[34:35], v[202:203], s[8:9], v[32:33]
	v_fma_f64 v[20:21], v[202:203], s[8:9], -v[32:33]
	v_add_f64_e32 v[18:19], v[34:35], v[18:19]
	v_mul_f64_e32 v[34:35], s[36:37], v[237:238]
	s_delay_alu instid0(VALU_DEP_3) | instskip(NEXT) | instid1(VALU_DEP_2)
	v_add_f64_e32 v[16:17], v[20:21], v[16:17]
	v_fma_f64 v[36:37], v[206:207], s[8:9], -v[34:35]
	s_delay_alu instid0(VALU_DEP_1) | instskip(SKIP_1) | instid1(VALU_DEP_1)
	v_add_f64_e32 v[24:25], v[36:37], v[24:25]
	v_mul_f64_e32 v[36:37], s[30:31], v[245:246]
	v_fma_f64 v[20:21], v[212:213], s[14:15], -v[36:37]
	v_fma_f64 v[38:39], v[212:213], s[14:15], v[36:37]
	s_delay_alu instid0(VALU_DEP_2) | instskip(SKIP_1) | instid1(VALU_DEP_3)
	v_add_f64_e32 v[16:17], v[20:21], v[16:17]
	v_fma_f64 v[20:21], v[8:9], s[10:11], v[22:23]
	v_add_f64_e32 v[18:19], v[38:39], v[18:19]
	v_mul_f64_e32 v[38:39], s[30:31], v[241:242]
	v_fma_f64 v[22:23], v[194:195], s[12:13], v[26:27]
	s_delay_alu instid0(VALU_DEP_4) | instskip(NEXT) | instid1(VALU_DEP_3)
	v_add_f64_e32 v[20:21], v[56:57], v[20:21]
	v_fma_f64 v[40:41], v[214:215], s[14:15], -v[38:39]
	s_delay_alu instid0(VALU_DEP_2) | instskip(SKIP_1) | instid1(VALU_DEP_3)
	v_add_f64_e32 v[20:21], v[22:23], v[20:21]
	v_fma_f64 v[22:23], v[198:199], s[0:1], v[30:31]
	v_add_f64_e32 v[24:25], v[40:41], v[24:25]
	v_mul_f64_e32 v[40:41], s[28:29], v[243:244]
	v_mul_f64_e32 v[30:31], s[16:17], v[247:248]
	s_delay_alu instid0(VALU_DEP_4) | instskip(SKIP_1) | instid1(VALU_DEP_4)
	v_add_f64_e32 v[20:21], v[22:23], v[20:21]
	v_fma_f64 v[22:23], v[206:207], s[8:9], v[34:35]
	v_fma_f64 v[42:43], v[216:217], s[26:27], v[40:41]
	s_delay_alu instid0(VALU_DEP_2) | instskip(SKIP_1) | instid1(VALU_DEP_3)
	v_add_f64_e32 v[20:21], v[22:23], v[20:21]
	v_fma_f64 v[22:23], v[214:215], s[14:15], v[38:39]
	v_add_f64_e32 v[114:115], v[42:43], v[18:19]
	v_mul_f64_e32 v[18:19], s[28:29], v[247:248]
	s_mov_b32 s29, 0xbfddbe06
	s_wait_alu 0xfffe
	v_mul_f64_e32 v[6:7], s[28:29], v[6:7]
	s_delay_alu instid0(VALU_DEP_4) | instskip(SKIP_1) | instid1(VALU_DEP_4)
	v_add_f64_e32 v[20:21], v[22:23], v[20:21]
	v_fma_f64 v[22:23], v[216:217], s[26:27], -v[40:41]
	v_fma_f64 v[42:43], v[218:219], s[26:27], -v[18:19]
	v_fma_f64 v[18:19], v[218:219], s[26:27], v[18:19]
	s_delay_alu instid0(VALU_DEP_3)
	v_add_f64_e32 v[122:123], v[22:23], v[16:17]
	v_fma_f64 v[16:17], v[4:5], s[26:27], v[6:7]
	v_fma_f64 v[4:5], v[4:5], s[26:27], -v[6:7]
	v_mul_f64_e32 v[6:7], s[28:29], v[10:11]
	v_add_f64_e32 v[120:121], v[18:19], v[20:21]
	v_add_f64_e32 v[112:113], v[42:43], v[24:25]
	;; [unrolled: 1-line block ×4, first 2 shown]
	v_fma_f64 v[10:11], v[8:9], s[26:27], -v[6:7]
	v_fma_f64 v[6:7], v[8:9], s[26:27], v[6:7]
	v_add_f64_e32 v[8:9], v[56:57], v[84:85]
	s_delay_alu instid0(VALU_DEP_3) | instskip(SKIP_1) | instid1(VALU_DEP_4)
	v_add_f64_e32 v[36:37], v[56:57], v[10:11]
	v_mul_f64_e32 v[10:11], s[22:23], v[249:250]
	v_add_f64_e32 v[6:7], v[56:57], v[6:7]
	s_delay_alu instid0(VALU_DEP_2) | instskip(NEXT) | instid1(VALU_DEP_1)
	v_fma_f64 v[16:17], v[160:161], s[10:11], -v[10:11]
	v_add_f64_e32 v[4:5], v[16:17], v[4:5]
	v_mul_f64_e32 v[16:17], s[24:25], v[0:1]
	s_delay_alu instid0(VALU_DEP_1) | instskip(NEXT) | instid1(VALU_DEP_1)
	v_fma_f64 v[0:1], v[196:197], s[14:15], -v[16:17]
	v_add_f64_e32 v[0:1], v[0:1], v[4:5]
	v_mul_f64_e32 v[4:5], s[20:21], v[239:240]
	s_delay_alu instid0(VALU_DEP_1) | instskip(SKIP_1) | instid1(VALU_DEP_2)
	v_fma_f64 v[18:19], v[202:203], s[12:13], -v[4:5]
	v_fma_f64 v[4:5], v[202:203], s[12:13], v[4:5]
	v_add_f64_e32 v[0:1], v[18:19], v[0:1]
	v_mul_f64_e32 v[18:19], s[18:19], v[245:246]
	s_delay_alu instid0(VALU_DEP_1) | instskip(NEXT) | instid1(VALU_DEP_1)
	v_fma_f64 v[20:21], v[212:213], s[8:9], -v[18:19]
	v_add_f64_e32 v[0:1], v[20:21], v[0:1]
	v_mul_f64_e32 v[20:21], s[22:23], v[251:252]
	s_delay_alu instid0(VALU_DEP_1) | instskip(NEXT) | instid1(VALU_DEP_1)
	v_fma_f64 v[22:23], v[194:195], s[10:11], v[20:21]
	v_add_f64_e32 v[6:7], v[22:23], v[6:7]
	v_mul_f64_e32 v[22:23], s[24:25], v[253:254]
	s_delay_alu instid0(VALU_DEP_1) | instskip(NEXT) | instid1(VALU_DEP_1)
	v_fma_f64 v[24:25], v[198:199], s[14:15], v[22:23]
	v_add_f64_e32 v[6:7], v[24:25], v[6:7]
	v_mul_f64_e32 v[24:25], s[20:21], v[237:238]
	v_dual_mov_b32 v238, v45 :: v_dual_mov_b32 v237, v44
	s_delay_alu instid0(VALU_DEP_2) | instskip(NEXT) | instid1(VALU_DEP_1)
	v_fma_f64 v[26:27], v[206:207], s[12:13], v[24:25]
	v_add_f64_e32 v[6:7], v[26:27], v[6:7]
	v_mul_f64_e32 v[26:27], s[18:19], v[241:242]
	s_delay_alu instid0(VALU_DEP_1) | instskip(NEXT) | instid1(VALU_DEP_1)
	v_fma_f64 v[28:29], v[214:215], s[8:9], v[26:27]
	v_add_f64_e32 v[6:7], v[28:29], v[6:7]
	v_mul_f64_e32 v[28:29], s[16:17], v[243:244]
	s_delay_alu instid0(VALU_DEP_1) | instskip(NEXT) | instid1(VALU_DEP_1)
	v_fma_f64 v[32:33], v[216:217], s[0:1], -v[28:29]
	v_add_f64_e32 v[58:59], v[32:33], v[0:1]
	v_fma_f64 v[0:1], v[218:219], s[0:1], v[30:31]
	s_delay_alu instid0(VALU_DEP_1)
	v_add_f64_e32 v[56:57], v[0:1], v[6:7]
	scratch_load_b64 v[6:7], off, off offset:256 th:TH_LOAD_LU ; 8-byte Folded Reload
	v_add_f64_e32 v[0:1], v[2:3], v[222:223]
	v_add_f64_e32 v[2:3], v[8:9], v[220:221]
	v_fma_f64 v[8:9], v[194:195], s[10:11], -v[20:21]
	v_fma_f64 v[20:21], v[206:207], s[12:13], -v[24:25]
	s_delay_alu instid0(VALU_DEP_4) | instskip(NEXT) | instid1(VALU_DEP_4)
	v_add_f64_e32 v[0:1], v[0:1], v[148:149]
	v_add_f64_e32 v[2:3], v[2:3], v[150:151]
	s_delay_alu instid0(VALU_DEP_4) | instskip(NEXT) | instid1(VALU_DEP_3)
	v_add_f64_e32 v[8:9], v[8:9], v[36:37]
	v_add_f64_e32 v[0:1], v[0:1], v[226:227]
	s_delay_alu instid0(VALU_DEP_3) | instskip(NEXT) | instid1(VALU_DEP_2)
	v_add_f64_e32 v[2:3], v[2:3], v[224:225]
	v_add_f64_e32 v[0:1], v[0:1], v[234:235]
	s_delay_alu instid0(VALU_DEP_2) | instskip(NEXT) | instid1(VALU_DEP_2)
	v_add_f64_e32 v[2:3], v[2:3], v[232:233]
	v_add_f64_e32 v[0:1], v[0:1], v[228:229]
	s_delay_alu instid0(VALU_DEP_1) | instskip(NEXT) | instid1(VALU_DEP_1)
	v_add_f64_e32 v[0:1], v[0:1], v[230:231]
	v_add_f64_e32 v[0:1], v[0:1], v[210:211]
	s_delay_alu instid0(VALU_DEP_1) | instskip(NEXT) | instid1(VALU_DEP_1)
	v_add_f64_e32 v[0:1], v[0:1], v[204:205]
	v_add_f64_e32 v[0:1], v[0:1], v[200:201]
	s_wait_loadcnt 0x0
	v_add_f64_e32 v[2:3], v[2:3], v[6:7]
	scratch_load_b64 v[6:7], off, off offset:248 th:TH_LOAD_LU ; 8-byte Folded Reload
	v_add_f64_e32 v[0:1], v[0:1], v[86:87]
	s_wait_loadcnt 0x0
	v_add_f64_e32 v[2:3], v[2:3], v[6:7]
	scratch_load_b64 v[6:7], off, off offset:240 th:TH_LOAD_LU ; 8-byte Folded Reload
	v_add_f64_e32 v[2:3], v[2:3], v[208:209]
	s_wait_loadcnt 0x0
	s_delay_alu instid0(VALU_DEP_1) | instskip(SKIP_3) | instid1(VALU_DEP_1)
	v_add_f64_e32 v[2:3], v[2:3], v[6:7]
	scratch_load_b64 v[6:7], off, off offset:192 th:TH_LOAD_LU ; 8-byte Folded Reload
	s_wait_loadcnt 0x0
	v_add_f64_e32 v[2:3], v[2:3], v[6:7]
	v_add_f64_e32 v[6:7], v[2:3], v[46:47]
	;; [unrolled: 1-line block ×3, first 2 shown]
	s_delay_alu instid0(VALU_DEP_2) | instskip(SKIP_3) | instid1(VALU_DEP_3)
	v_add_f64_e32 v[0:1], v[6:7], v[192:193]
	v_fma_f64 v[6:7], v[160:161], s[10:11], v[10:11]
	v_fma_f64 v[10:11], v[196:197], s[14:15], v[16:17]
	v_fma_f64 v[16:17], v[198:199], s[14:15], -v[22:23]
	v_add_f64_e32 v[6:7], v[6:7], v[34:35]
	s_delay_alu instid0(VALU_DEP_2) | instskip(SKIP_1) | instid1(VALU_DEP_3)
	v_add_f64_e32 v[8:9], v[16:17], v[8:9]
	v_fma_f64 v[16:17], v[214:215], s[8:9], -v[26:27]
	v_add_f64_e32 v[6:7], v[10:11], v[6:7]
	v_fma_f64 v[10:11], v[212:213], s[8:9], v[18:19]
	v_fma_f64 v[18:19], v[218:219], s[0:1], -v[30:31]
	s_delay_alu instid0(VALU_DEP_3) | instskip(SKIP_2) | instid1(VALU_DEP_3)
	v_add_f64_e32 v[4:5], v[4:5], v[6:7]
	v_add_f64_e32 v[6:7], v[20:21], v[8:9]
	v_fma_f64 v[8:9], v[216:217], s[0:1], v[28:29]
	v_add_f64_e32 v[4:5], v[10:11], v[4:5]
	s_delay_alu instid0(VALU_DEP_3) | instskip(NEXT) | instid1(VALU_DEP_2)
	v_add_f64_e32 v[10:11], v[16:17], v[6:7]
	v_add_f64_e32 v[6:7], v[8:9], v[4:5]
	s_delay_alu instid0(VALU_DEP_2) | instskip(SKIP_2) | instid1(VALU_DEP_2)
	v_add_f64_e32 v[4:5], v[18:19], v[10:11]
	v_lshrrev_b32_e32 v8, 2, v255
	v_and_b32_e32 v9, 3, v255
	v_mul_u32_u24_e32 v8, 52, v8
	s_delay_alu instid0(VALU_DEP_1) | instskip(NEXT) | instid1(VALU_DEP_1)
	v_or_b32_e32 v8, v8, v9
	v_lshl_add_u32 v8, v8, 4, v13
	ds_store_b128 v8, v[120:123] offset:128
	ds_store_b128 v8, v[108:111] offset:192
	;; [unrolled: 1-line block ×11, first 2 shown]
	ds_store_b128 v8, v[0:3]
	ds_store_b128 v8, v[4:7] offset:768
.LBB0_9:
	s_or_b32 exec_lo, exec_lo, s33
	global_wb scope:SCOPE_SE
	s_wait_storecnt_dscnt 0x0
	s_barrier_signal -1
	s_barrier_wait -1
	global_inv scope:SCOPE_SE
	ds_load_b128 v[0:3], v12 offset:7488
	ds_load_b128 v[4:7], v12 offset:8736
	;; [unrolled: 1-line block ×6, first 2 shown]
	s_mov_b32 s0, 0xe8584caa
	s_mov_b32 s1, 0xbfebb67a
	;; [unrolled: 1-line block ×3, first 2 shown]
	s_wait_alu 0xfffe
	s_mov_b32 s8, s0
	s_wait_dscnt 0x5
	v_mul_f64_e32 v[16:17], v[54:55], v[2:3]
	v_mul_f64_e32 v[18:19], v[54:55], v[0:1]
	s_wait_dscnt 0x4
	v_mul_f64_e32 v[20:21], v[62:63], v[6:7]
	v_mul_f64_e32 v[22:23], v[62:63], v[4:5]
	;; [unrolled: 3-line block ×6, first 2 shown]
	v_fma_f64 v[16:17], v[52:53], v[0:1], v[16:17]
	v_fma_f64 v[18:19], v[52:53], v[2:3], -v[18:19]
	v_fma_f64 v[20:21], v[60:61], v[4:5], v[20:21]
	v_fma_f64 v[22:23], v[60:61], v[6:7], -v[22:23]
	;; [unrolled: 2-line block ×5, first 2 shown]
	ds_load_b128 v[0:3], v12
	ds_load_b128 v[4:7], v12 offset:1248
	ds_load_b128 v[8:11], v12 offset:2496
	;; [unrolled: 1-line block ×5, first 2 shown]
	global_wb scope:SCOPE_SE
	s_wait_dscnt 0x0
	s_barrier_signal -1
	s_barrier_wait -1
	global_inv scope:SCOPE_SE
	scratch_load_b32 v13, off, off offset:200 th:TH_LOAD_LU ; 4-byte Folded Reload
	v_fma_f64 v[36:37], v[80:81], v[68:69], v[36:37]
	v_fma_f64 v[38:39], v[80:81], v[70:71], -v[38:39]
	v_add_f64_e64 v[60:61], v[0:1], -v[16:17]
	v_add_f64_e64 v[62:63], v[2:3], -v[18:19]
	;; [unrolled: 1-line block ×12, first 2 shown]
	v_fma_f64 v[0:1], v[0:1], 2.0, -v[60:61]
	v_fma_f64 v[2:3], v[2:3], 2.0, -v[62:63]
	;; [unrolled: 1-line block ×10, first 2 shown]
	s_wait_loadcnt 0x0
	ds_store_b128 v13, v[0:3]
	ds_store_b128 v13, v[60:63] offset:832
	scratch_load_b32 v0, off, off offset:220 th:TH_LOAD_LU ; 4-byte Folded Reload
	v_fma_f64 v[56:57], v[56:57], 2.0, -v[80:81]
	v_fma_f64 v[58:59], v[58:59], 2.0, -v[82:83]
	s_wait_loadcnt 0x0
	ds_store_b128 v0, v[4:7]
	ds_store_b128 v0, v[64:67] offset:832
	scratch_load_b32 v0, off, off offset:216 th:TH_LOAD_LU ; 4-byte Folded Reload
	s_wait_loadcnt 0x0
	ds_store_b128 v0, v[8:11]
	ds_store_b128 v0, v[68:71] offset:832
	scratch_load_b32 v0, off, off offset:212 th:TH_LOAD_LU ; 4-byte Folded Reload
	;; [unrolled: 4-line block ×4, first 2 shown]
	s_wait_loadcnt 0x0
	ds_store_b128 v0, v[56:59]
	ds_store_b128 v0, v[80:83] offset:832
	global_wb scope:SCOPE_SE
	s_wait_dscnt 0x0
	s_barrier_signal -1
	s_barrier_wait -1
	global_inv scope:SCOPE_SE
	ds_load_b128 v[0:3], v12 offset:4992
	ds_load_b128 v[4:7], v12 offset:9984
	;; [unrolled: 1-line block ×8, first 2 shown]
	s_wait_dscnt 0x7
	v_mul_f64_e32 v[16:17], v[106:107], v[2:3]
	v_mul_f64_e32 v[18:19], v[106:107], v[0:1]
	s_wait_dscnt 0x6
	v_mul_f64_e32 v[20:21], v[118:119], v[6:7]
	v_mul_f64_e32 v[22:23], v[118:119], v[4:5]
	s_wait_dscnt 0x5
	v_mul_f64_e32 v[24:25], v[126:127], v[10:11]
	v_mul_f64_e32 v[26:27], v[126:127], v[8:9]
	s_wait_dscnt 0x4
	v_mul_f64_e32 v[28:29], v[130:131], v[50:51]
	v_mul_f64_e32 v[30:31], v[130:131], v[48:49]
	s_wait_dscnt 0x3
	v_mul_f64_e32 v[32:33], v[134:135], v[54:55]
	v_mul_f64_e32 v[34:35], v[134:135], v[52:53]
	s_wait_dscnt 0x2
	v_mul_f64_e32 v[36:37], v[138:139], v[58:59]
	v_mul_f64_e32 v[38:39], v[138:139], v[56:57]
	s_wait_dscnt 0x1
	v_mul_f64_e32 v[40:41], v[142:143], v[62:63]
	v_mul_f64_e32 v[42:43], v[142:143], v[60:61]
	s_wait_dscnt 0x0
	v_mul_f64_e32 v[44:45], v[146:147], v[66:67]
	v_mul_f64_e32 v[46:47], v[146:147], v[64:65]
	v_fma_f64 v[16:17], v[104:105], v[0:1], v[16:17]
	v_fma_f64 v[18:19], v[104:105], v[2:3], -v[18:19]
	v_fma_f64 v[20:21], v[116:117], v[4:5], v[20:21]
	v_fma_f64 v[22:23], v[116:117], v[6:7], -v[22:23]
	v_fma_f64 v[24:25], v[124:125], v[8:9], v[24:25]
	v_fma_f64 v[26:27], v[124:125], v[10:11], -v[26:27]
	v_fma_f64 v[28:29], v[128:129], v[48:49], v[28:29]
	v_fma_f64 v[30:31], v[128:129], v[50:51], -v[30:31]
	v_fma_f64 v[32:33], v[132:133], v[52:53], v[32:33]
	v_fma_f64 v[34:35], v[132:133], v[54:55], -v[34:35]
	v_fma_f64 v[36:37], v[136:137], v[56:57], v[36:37]
	v_fma_f64 v[38:39], v[136:137], v[58:59], -v[38:39]
	v_fma_f64 v[40:41], v[140:141], v[60:61], v[40:41]
	v_fma_f64 v[42:43], v[140:141], v[62:63], -v[42:43]
	v_fma_f64 v[44:45], v[144:145], v[64:65], v[44:45]
	v_fma_f64 v[46:47], v[144:145], v[66:67], -v[46:47]
	ds_load_b128 v[0:3], v12
	ds_load_b128 v[4:7], v12 offset:1248
	ds_load_b128 v[8:11], v12 offset:2496
	;; [unrolled: 1-line block ×3, first 2 shown]
	global_wb scope:SCOPE_SE
	s_wait_dscnt 0x0
	s_barrier_signal -1
	s_barrier_wait -1
	global_inv scope:SCOPE_SE
	v_add_f64_e32 v[68:69], v[0:1], v[16:17]
	v_add_f64_e32 v[52:53], v[16:17], v[20:21]
	;; [unrolled: 1-line block ×3, first 2 shown]
	v_add_f64_e64 v[70:71], v[18:19], -v[22:23]
	v_add_f64_e32 v[18:19], v[2:3], v[18:19]
	v_add_f64_e32 v[56:57], v[24:25], v[28:29]
	;; [unrolled: 1-line block ×3, first 2 shown]
	v_add_f64_e64 v[16:17], v[16:17], -v[20:21]
	v_add_f64_e32 v[72:73], v[4:5], v[24:25]
	v_add_f64_e32 v[60:61], v[32:33], v[36:37]
	;; [unrolled: 1-line block ×4, first 2 shown]
	v_add_f64_e64 v[26:27], v[26:27], -v[30:31]
	v_add_f64_e64 v[24:25], v[24:25], -v[28:29]
	v_add_f64_e32 v[64:65], v[40:41], v[44:45]
	v_add_f64_e32 v[66:67], v[42:43], v[46:47]
	v_add_f64_e32 v[76:77], v[8:9], v[32:33]
	v_add_f64_e32 v[78:79], v[10:11], v[34:35]
	v_add_f64_e64 v[34:35], v[34:35], -v[38:39]
	v_add_f64_e64 v[32:33], v[32:33], -v[36:37]
	v_add_f64_e32 v[80:81], v[48:49], v[40:41]
	v_add_f64_e32 v[82:83], v[50:51], v[42:43]
	v_add_f64_e64 v[42:43], v[42:43], -v[46:47]
	v_add_f64_e64 v[40:41], v[40:41], -v[44:45]
	v_fma_f64 v[84:85], v[52:53], -0.5, v[0:1]
	v_fma_f64 v[86:87], v[54:55], -0.5, v[2:3]
	v_add_f64_e32 v[0:1], v[68:69], v[20:21]
	v_add_f64_e32 v[2:3], v[18:19], v[22:23]
	v_fma_f64 v[88:89], v[56:57], -0.5, v[4:5]
	v_fma_f64 v[90:91], v[58:59], -0.5, v[6:7]
	v_add_f64_e32 v[4:5], v[72:73], v[28:29]
	v_fma_f64 v[92:93], v[60:61], -0.5, v[8:9]
	v_fma_f64 v[94:95], v[62:63], -0.5, v[10:11]
	;; [unrolled: 3-line block ×3, first 2 shown]
	v_add_f64_e32 v[8:9], v[76:77], v[36:37]
	v_add_f64_e32 v[10:11], v[78:79], v[38:39]
	;; [unrolled: 1-line block ×4, first 2 shown]
	v_fma_f64 v[52:53], v[70:71], s[0:1], v[84:85]
	s_wait_alu 0xfffe
	v_fma_f64 v[54:55], v[16:17], s[8:9], v[86:87]
	v_fma_f64 v[56:57], v[70:71], s[8:9], v[84:85]
	;; [unrolled: 1-line block ×11, first 2 shown]
	ds_store_b128 v12, v[0:3]
	ds_store_b128 v12, v[52:55] offset:1664
	ds_store_b128 v12, v[56:59] offset:3328
	ds_store_b128 v14, v[4:7]
	ds_store_b128 v14, v[60:63] offset:1664
	ds_store_b128 v14, v[64:67] offset:3328
	;; [unrolled: 3-line block ×3, first 2 shown]
	scratch_load_b32 v0, off, off offset:232 th:TH_LOAD_LU ; 4-byte Folded Reload
	v_fma_f64 v[76:77], v[42:43], s[0:1], v[96:97]
	v_fma_f64 v[78:79], v[40:41], s[8:9], v[98:99]
	;; [unrolled: 1-line block ×4, first 2 shown]
	s_wait_loadcnt 0x0
	ds_store_b128 v0, v[48:51] offset:9984
	ds_store_b128 v0, v[76:79] offset:11648
	;; [unrolled: 1-line block ×3, first 2 shown]
	global_wb scope:SCOPE_SE
	s_wait_dscnt 0x0
	s_barrier_signal -1
	s_barrier_wait -1
	global_inv scope:SCOPE_SE
	ds_load_b128 v[0:3], v12 offset:4992
	ds_load_b128 v[4:7], v12 offset:9984
	;; [unrolled: 1-line block ×8, first 2 shown]
	s_wait_dscnt 0x7
	v_mul_f64_e32 v[13:14], v[158:159], v[2:3]
	v_mul_f64_e32 v[15:16], v[158:159], v[0:1]
	s_wait_dscnt 0x6
	v_mul_f64_e32 v[17:18], v[166:167], v[6:7]
	v_mul_f64_e32 v[19:20], v[166:167], v[4:5]
	s_wait_dscnt 0x5
	v_mul_f64_e32 v[21:22], v[170:171], v[10:11]
	s_wait_dscnt 0x4
	;; [unrolled: 2-line block ×4, first 2 shown]
	v_mul_f64_e32 v[43:44], v[190:191], v[64:65]
	v_mul_f64_e32 v[31:32], v[178:179], v[52:53]
	;; [unrolled: 1-line block ×9, first 2 shown]
	v_fma_f64 v[13:14], v[156:157], v[0:1], v[13:14]
	v_fma_f64 v[15:16], v[156:157], v[2:3], -v[15:16]
	v_fma_f64 v[17:18], v[164:165], v[4:5], v[17:18]
	v_fma_f64 v[19:20], v[164:165], v[6:7], -v[19:20]
	v_fma_f64 v[21:22], v[168:169], v[8:9], v[21:22]
	v_fma_f64 v[25:26], v[172:173], v[48:49], v[25:26]
	;; [unrolled: 1-line block ×3, first 2 shown]
	ds_load_b128 v[0:3], v12
	ds_load_b128 v[4:7], v12 offset:1248
	v_fma_f64 v[43:44], v[188:189], v[66:67], -v[43:44]
	v_fma_f64 v[31:32], v[176:177], v[54:55], -v[31:32]
	;; [unrolled: 1-line block ×4, first 2 shown]
	ds_load_b128 v[8:11], v12 offset:2496
	ds_load_b128 v[48:51], v12 offset:3744
	v_fma_f64 v[33:34], v[180:181], v[56:57], v[33:34]
	v_fma_f64 v[35:36], v[180:181], v[58:59], -v[35:36]
	v_fma_f64 v[37:38], v[184:185], v[60:61], v[37:38]
	v_fma_f64 v[39:40], v[184:185], v[62:63], -v[39:40]
	v_fma_f64 v[41:42], v[188:189], v[64:65], v[41:42]
	s_wait_dscnt 0x3
	v_add_f64_e32 v[66:67], v[0:1], v[13:14]
	v_add_f64_e32 v[45:46], v[13:14], v[17:18]
	;; [unrolled: 1-line block ×3, first 2 shown]
	v_add_f64_e64 v[68:69], v[15:16], -v[19:20]
	v_add_f64_e32 v[15:16], v[2:3], v[15:16]
	v_add_f64_e32 v[54:55], v[21:22], v[25:26]
	v_add_f64_e64 v[13:14], v[13:14], -v[17:18]
	s_wait_dscnt 0x2
	v_add_f64_e32 v[70:71], v[4:5], v[21:22]
	v_add_f64_e64 v[21:22], v[21:22], -v[25:26]
	s_wait_dscnt 0x1
	v_add_f64_e32 v[74:75], v[8:9], v[29:30]
	v_add_f64_e32 v[72:73], v[6:7], v[23:24]
	;; [unrolled: 1-line block ×3, first 2 shown]
	v_add_f64_e64 v[23:24], v[23:24], -v[27:28]
	v_add_f64_e32 v[58:59], v[29:30], v[33:34]
	v_add_f64_e32 v[60:61], v[31:32], v[35:36]
	;; [unrolled: 1-line block ×5, first 2 shown]
	v_add_f64_e64 v[31:32], v[31:32], -v[35:36]
	v_add_f64_e64 v[29:30], v[29:30], -v[33:34]
	s_wait_dscnt 0x0
	v_add_f64_e32 v[78:79], v[48:49], v[37:38]
	v_add_f64_e32 v[80:81], v[50:51], v[39:40]
	v_add_f64_e64 v[39:40], v[39:40], -v[43:44]
	v_add_f64_e64 v[37:38], v[37:38], -v[41:42]
	v_fma_f64 v[45:46], v[45:46], -0.5, v[0:1]
	v_fma_f64 v[82:83], v[52:53], -0.5, v[2:3]
	v_add_f64_e32 v[0:1], v[66:67], v[17:18]
	v_add_f64_e32 v[2:3], v[15:16], v[19:20]
	v_fma_f64 v[84:85], v[54:55], -0.5, v[4:5]
	v_mad_co_u64_u32 v[15:16], null, s4, v255, 0
	v_add_f64_e32 v[4:5], v[70:71], v[25:26]
	v_fma_f64 v[86:87], v[56:57], -0.5, v[6:7]
	v_add_f64_e32 v[6:7], v[72:73], v[27:28]
	v_fma_f64 v[88:89], v[58:59], -0.5, v[8:9]
	v_fma_f64 v[90:91], v[60:61], -0.5, v[10:11]
	v_add_f64_e32 v[8:9], v[74:75], v[33:34]
	v_fma_f64 v[94:95], v[64:65], -0.5, v[50:51]
	v_fma_f64 v[92:93], v[62:63], -0.5, v[48:49]
	v_add_f64_e32 v[10:11], v[76:77], v[35:36]
	v_add_f64_e32 v[48:49], v[78:79], v[41:42]
	;; [unrolled: 1-line block ×3, first 2 shown]
	v_fma_f64 v[52:53], v[68:69], s[0:1], v[45:46]
	v_fma_f64 v[54:55], v[13:14], s[8:9], v[82:83]
	;; [unrolled: 1-line block ×6, first 2 shown]
	ds_store_b128 v12, v[0:3]
	ds_store_b128 v12, v[52:55] offset:4992
	scratch_load_b32 v0, off, off offset:224 th:TH_LOAD_LU ; 4-byte Folded Reload
	v_fma_f64 v[62:63], v[21:22], s[8:9], v[86:87]
	v_fma_f64 v[66:67], v[21:22], s[0:1], v[86:87]
	;; [unrolled: 1-line block ×10, first 2 shown]
	v_mad_co_u64_u32 v[13:14], null, s6, v236, 0
	s_mul_u64 s[0:1], s[4:5], 0x1d40
	s_wait_loadcnt 0x0
	ds_store_b128 v0, v[56:59] offset:9984
	ds_store_b128 v12, v[4:7] offset:1248
	ds_store_b128 v0, v[60:63] offset:6240
	ds_store_b128 v0, v[64:67] offset:11232
	ds_store_b128 v238, v[68:71] offset:4992
	ds_store_b128 v238, v[72:75] offset:9984
	ds_store_b128 v12, v[8:11] offset:2496
	ds_store_b128 v12, v[48:51] offset:3744
	ds_store_b128 v237, v[76:79] offset:4992
	ds_store_b128 v237, v[80:83] offset:9984
	v_mad_co_u64_u32 v[17:18], null, s7, v236, v[14:15]
	v_mov_b32_e32 v14, v16
	global_wb scope:SCOPE_SE
	s_wait_dscnt 0x0
	s_barrier_signal -1
	s_barrier_wait -1
	global_inv scope:SCOPE_SE
	v_mad_co_u64_u32 v[18:19], null, s5, v255, v[14:15]
	v_mov_b32_e32 v14, v17
	ds_load_b128 v[0:3], v12
	ds_load_b128 v[8:11], v12 offset:1248
	ds_load_b128 v[4:7], v12 offset:7488
	;; [unrolled: 1-line block ×3, first 2 shown]
	v_lshlrev_b64_e32 v[13:14], 4, v[13:14]
	v_mov_b32_e32 v16, v18
	ds_load_b128 v[52:55], v12 offset:2496
	ds_load_b128 v[56:59], v12 offset:3744
	;; [unrolled: 1-line block ×4, first 2 shown]
	v_add_co_u32 v98, vcc_lo, s2, v13
	v_lshlrev_b64_e32 v[16:17], 4, v[15:16]
	s_wait_alu 0xfffd
	v_add_co_ci_u32_e32 v99, vcc_lo, s3, v14, vcc_lo
	ds_load_b128 v[68:71], v12 offset:4992
	ds_load_b128 v[72:75], v12 offset:6240
	;; [unrolled: 1-line block ×4, first 2 shown]
	s_clause 0x1
	scratch_load_b128 v[104:107], off, off th:TH_LOAD_LU
	scratch_load_b128 v[110:113], off, off offset:32 th:TH_LOAD_LU
	v_add_co_u32 v98, vcc_lo, v98, v16
	s_wait_alu 0xfffd
	v_add_co_ci_u32_e32 v99, vcc_lo, v99, v17, vcc_lo
	s_movk_i32 s2, 0xe7a0
	s_wait_alu 0xfffe
	v_add_co_u32 v100, vcc_lo, v98, s0
	s_mov_b32 s3, -1
	s_wait_alu 0xfffd
	v_add_co_ci_u32_e32 v101, vcc_lo, s1, v99, vcc_lo
	s_wait_alu 0xfffe
	s_mul_u64 s[2:3], s[4:5], s[2:3]
	s_mov_b32 s4, 0x11811812
	s_wait_alu 0xfffe
	v_add_co_u32 v102, vcc_lo, v100, s2
	s_wait_alu 0xfffd
	v_add_co_ci_u32_e32 v103, vcc_lo, s3, v101, vcc_lo
	s_mov_b32 s5, 0x3f518118
	scratch_load_b128 v[120:123], off, off offset:96 th:TH_LOAD_LU ; 16-byte Folded Reload
	s_wait_loadcnt_dscnt 0x20b
	v_mul_f64_e32 v[18:19], v[106:107], v[2:3]
	v_mul_f64_e32 v[20:21], v[106:107], v[0:1]
	s_wait_loadcnt_dscnt 0x109
	v_mul_f64_e32 v[22:23], v[112:113], v[6:7]
	v_mul_f64_e32 v[24:25], v[112:113], v[4:5]
	s_clause 0x1
	scratch_load_b128 v[106:109], off, off offset:16 th:TH_LOAD_LU
	scratch_load_b128 v[112:115], off, off offset:48 th:TH_LOAD_LU
	s_wait_loadcnt_dscnt 0x205
	v_mul_f64_e32 v[38:39], v[122:123], v[62:63]
	v_mul_f64_e32 v[40:41], v[122:123], v[60:61]
	scratch_load_b128 v[122:125], off, off offset:112 th:TH_LOAD_LU ; 16-byte Folded Reload
	v_fma_f64 v[0:1], v[104:105], v[0:1], v[18:19]
	v_fma_f64 v[2:3], v[104:105], v[2:3], -v[20:21]
	v_fma_f64 v[4:5], v[110:111], v[4:5], v[22:23]
	v_fma_f64 v[6:7], v[110:111], v[6:7], -v[24:25]
	v_fma_f64 v[24:25], v[120:121], v[60:61], v[38:39]
	s_wait_alu 0xfffe
	v_mul_f64_e32 v[0:1], s[4:5], v[0:1]
	v_mul_f64_e32 v[2:3], s[4:5], v[2:3]
	;; [unrolled: 1-line block ×4, first 2 shown]
	s_wait_loadcnt 0x2
	v_mul_f64_e32 v[26:27], v[108:109], v[10:11]
	s_wait_loadcnt 0x1
	v_mul_f64_e32 v[30:31], v[114:115], v[50:51]
	v_mul_f64_e32 v[32:33], v[114:115], v[48:49]
	scratch_load_b128 v[114:117], off, off offset:64 th:TH_LOAD_LU ; 16-byte Folded Reload
	v_mul_f64_e32 v[28:29], v[108:109], v[8:9]
	s_wait_loadcnt_dscnt 0x104
	v_mul_f64_e32 v[46:47], v[124:125], v[66:67]
	v_mul_f64_e32 v[80:81], v[124:125], v[64:65]
	scratch_load_b128 v[124:127], off, off offset:128 th:TH_LOAD_LU ; 16-byte Folded Reload
	v_fma_f64 v[8:9], v[106:107], v[8:9], v[26:27]
	v_fma_f64 v[16:17], v[112:113], v[48:49], v[30:31]
	v_fma_f64 v[18:19], v[112:113], v[50:51], -v[32:33]
	v_fma_f64 v[26:27], v[120:121], v[62:63], -v[40:41]
	;; [unrolled: 1-line block ×3, first 2 shown]
	v_fma_f64 v[32:33], v[122:123], v[64:65], v[46:47]
	v_mul_f64_e32 v[8:9], s[4:5], v[8:9]
	s_delay_alu instid0(VALU_DEP_3)
	v_mul_f64_e32 v[10:11], s[4:5], v[10:11]
	s_wait_loadcnt 0x1
	v_mul_f64_e32 v[34:35], v[116:117], v[54:55]
	v_mul_f64_e32 v[36:37], v[116:117], v[52:53]
	scratch_load_b128 v[116:119], off, off offset:80 th:TH_LOAD_LU ; 16-byte Folded Reload
	s_wait_loadcnt_dscnt 0x103
	v_mul_f64_e32 v[82:83], v[126:127], v[70:71]
	v_mul_f64_e32 v[84:85], v[126:127], v[68:69]
	scratch_load_b128 v[126:129], off, off offset:144 th:TH_LOAD_LU ; 16-byte Folded Reload
	v_fma_f64 v[20:21], v[114:115], v[52:53], v[34:35]
	v_fma_f64 v[22:23], v[114:115], v[54:55], -v[36:37]
	v_fma_f64 v[34:35], v[122:123], v[66:67], -v[80:81]
	v_add_co_u32 v52, vcc_lo, v102, s0
	s_wait_alu 0xfffd
	v_add_co_ci_u32_e32 v53, vcc_lo, s1, v103, vcc_lo
	s_delay_alu instid0(VALU_DEP_2) | instskip(SKIP_1) | instid1(VALU_DEP_2)
	v_add_co_u32 v54, vcc_lo, v52, s2
	s_wait_alu 0xfffd
	v_add_co_ci_u32_e32 v55, vcc_lo, s3, v53, vcc_lo
	v_fma_f64 v[36:37], v[124:125], v[68:69], v[82:83]
	v_fma_f64 v[38:39], v[124:125], v[70:71], -v[84:85]
	s_wait_loadcnt 0x1
	v_mul_f64_e32 v[42:43], v[118:119], v[58:59]
	v_mul_f64_e32 v[44:45], v[118:119], v[56:57]
	s_wait_loadcnt_dscnt 0x1
	v_mul_f64_e32 v[86:87], v[128:129], v[78:79]
	v_mul_f64_e32 v[88:89], v[128:129], v[76:77]
	scratch_load_b128 v[128:131], off, off offset:160 th:TH_LOAD_LU ; 16-byte Folded Reload
	v_fma_f64 v[28:29], v[116:117], v[56:57], v[42:43]
	v_fma_f64 v[30:31], v[116:117], v[58:59], -v[44:45]
	v_add_co_u32 v56, vcc_lo, v54, s0
	s_wait_alu 0xfffd
	v_add_co_ci_u32_e32 v57, vcc_lo, s1, v55, vcc_lo
	v_fma_f64 v[40:41], v[126:127], v[76:77], v[86:87]
	v_fma_f64 v[42:43], v[126:127], v[78:79], -v[88:89]
	s_wait_loadcnt 0x0
	v_mul_f64_e32 v[90:91], v[130:131], v[74:75]
	v_mul_f64_e32 v[92:93], v[130:131], v[72:73]
	scratch_load_b128 v[130:133], off, off offset:176 th:TH_LOAD_LU ; 16-byte Folded Reload
	v_fma_f64 v[44:45], v[128:129], v[72:73], v[90:91]
	v_fma_f64 v[46:47], v[128:129], v[74:75], -v[92:93]
	s_wait_loadcnt_dscnt 0x0
	v_mul_f64_e32 v[94:95], v[132:133], v[14:15]
	v_mul_f64_e32 v[96:97], v[132:133], v[12:13]
	s_delay_alu instid0(VALU_DEP_2) | instskip(NEXT) | instid1(VALU_DEP_2)
	v_fma_f64 v[48:49], v[130:131], v[12:13], v[94:95]
	v_fma_f64 v[50:51], v[130:131], v[14:15], -v[96:97]
	v_mul_f64_e32 v[12:13], s[4:5], v[16:17]
	v_mul_f64_e32 v[14:15], s[4:5], v[18:19]
	;; [unrolled: 1-line block ×18, first 2 shown]
	v_add_co_u32 v48, vcc_lo, v56, s2
	s_wait_alu 0xfffd
	v_add_co_ci_u32_e32 v49, vcc_lo, s3, v57, vcc_lo
	s_delay_alu instid0(VALU_DEP_2) | instskip(SKIP_1) | instid1(VALU_DEP_2)
	v_add_co_u32 v50, vcc_lo, v48, s0
	s_wait_alu 0xfffd
	v_add_co_ci_u32_e32 v51, vcc_lo, s1, v49, vcc_lo
	s_delay_alu instid0(VALU_DEP_2) | instskip(SKIP_1) | instid1(VALU_DEP_2)
	;; [unrolled: 4-line block ×5, first 2 shown]
	v_add_co_u32 v64, vcc_lo, v62, s0
	s_wait_alu 0xfffd
	v_add_co_ci_u32_e32 v65, vcc_lo, s1, v63, vcc_lo
	s_clause 0x4
	global_store_b128 v[98:99], v[0:3], off
	global_store_b128 v[100:101], v[4:7], off
	;; [unrolled: 1-line block ×12, first 2 shown]
.LBB0_10:
	s_nop 0
	s_sendmsg sendmsg(MSG_DEALLOC_VGPRS)
	s_endpgm
	.section	.rodata,"a",@progbits
	.p2align	6, 0x0
	.amdhsa_kernel bluestein_single_back_len936_dim1_dp_op_CI_CI
		.amdhsa_group_segment_fixed_size 44928
		.amdhsa_private_segment_fixed_size 308
		.amdhsa_kernarg_size 104
		.amdhsa_user_sgpr_count 2
		.amdhsa_user_sgpr_dispatch_ptr 0
		.amdhsa_user_sgpr_queue_ptr 0
		.amdhsa_user_sgpr_kernarg_segment_ptr 1
		.amdhsa_user_sgpr_dispatch_id 0
		.amdhsa_user_sgpr_private_segment_size 0
		.amdhsa_wavefront_size32 1
		.amdhsa_uses_dynamic_stack 0
		.amdhsa_enable_private_segment 1
		.amdhsa_system_sgpr_workgroup_id_x 1
		.amdhsa_system_sgpr_workgroup_id_y 0
		.amdhsa_system_sgpr_workgroup_id_z 0
		.amdhsa_system_sgpr_workgroup_info 0
		.amdhsa_system_vgpr_workitem_id 0
		.amdhsa_next_free_vgpr 256
		.amdhsa_next_free_sgpr 48
		.amdhsa_reserve_vcc 1
		.amdhsa_float_round_mode_32 0
		.amdhsa_float_round_mode_16_64 0
		.amdhsa_float_denorm_mode_32 3
		.amdhsa_float_denorm_mode_16_64 3
		.amdhsa_fp16_overflow 0
		.amdhsa_workgroup_processor_mode 1
		.amdhsa_memory_ordered 1
		.amdhsa_forward_progress 0
		.amdhsa_round_robin_scheduling 0
		.amdhsa_exception_fp_ieee_invalid_op 0
		.amdhsa_exception_fp_denorm_src 0
		.amdhsa_exception_fp_ieee_div_zero 0
		.amdhsa_exception_fp_ieee_overflow 0
		.amdhsa_exception_fp_ieee_underflow 0
		.amdhsa_exception_fp_ieee_inexact 0
		.amdhsa_exception_int_div_zero 0
	.end_amdhsa_kernel
	.text
.Lfunc_end0:
	.size	bluestein_single_back_len936_dim1_dp_op_CI_CI, .Lfunc_end0-bluestein_single_back_len936_dim1_dp_op_CI_CI
                                        ; -- End function
	.section	.AMDGPU.csdata,"",@progbits
; Kernel info:
; codeLenInByte = 20332
; NumSgprs: 50
; NumVgprs: 256
; ScratchSize: 308
; MemoryBound: 0
; FloatMode: 240
; IeeeMode: 1
; LDSByteSize: 44928 bytes/workgroup (compile time only)
; SGPRBlocks: 6
; VGPRBlocks: 31
; NumSGPRsForWavesPerEU: 50
; NumVGPRsForWavesPerEU: 256
; Occupancy: 4
; WaveLimiterHint : 1
; COMPUTE_PGM_RSRC2:SCRATCH_EN: 1
; COMPUTE_PGM_RSRC2:USER_SGPR: 2
; COMPUTE_PGM_RSRC2:TRAP_HANDLER: 0
; COMPUTE_PGM_RSRC2:TGID_X_EN: 1
; COMPUTE_PGM_RSRC2:TGID_Y_EN: 0
; COMPUTE_PGM_RSRC2:TGID_Z_EN: 0
; COMPUTE_PGM_RSRC2:TIDIG_COMP_CNT: 0
	.text
	.p2alignl 7, 3214868480
	.fill 96, 4, 3214868480
	.type	__hip_cuid_2236b8e9d5e3970f,@object ; @__hip_cuid_2236b8e9d5e3970f
	.section	.bss,"aw",@nobits
	.globl	__hip_cuid_2236b8e9d5e3970f
__hip_cuid_2236b8e9d5e3970f:
	.byte	0                               ; 0x0
	.size	__hip_cuid_2236b8e9d5e3970f, 1

	.ident	"AMD clang version 19.0.0git (https://github.com/RadeonOpenCompute/llvm-project roc-6.4.0 25133 c7fe45cf4b819c5991fe208aaa96edf142730f1d)"
	.section	".note.GNU-stack","",@progbits
	.addrsig
	.addrsig_sym __hip_cuid_2236b8e9d5e3970f
	.amdgpu_metadata
---
amdhsa.kernels:
  - .args:
      - .actual_access:  read_only
        .address_space:  global
        .offset:         0
        .size:           8
        .value_kind:     global_buffer
      - .actual_access:  read_only
        .address_space:  global
        .offset:         8
        .size:           8
        .value_kind:     global_buffer
      - .actual_access:  read_only
        .address_space:  global
        .offset:         16
        .size:           8
        .value_kind:     global_buffer
      - .actual_access:  read_only
        .address_space:  global
        .offset:         24
        .size:           8
        .value_kind:     global_buffer
      - .actual_access:  read_only
        .address_space:  global
        .offset:         32
        .size:           8
        .value_kind:     global_buffer
      - .offset:         40
        .size:           8
        .value_kind:     by_value
      - .address_space:  global
        .offset:         48
        .size:           8
        .value_kind:     global_buffer
      - .address_space:  global
        .offset:         56
        .size:           8
        .value_kind:     global_buffer
      - .address_space:  global
        .offset:         64
        .size:           8
        .value_kind:     global_buffer
      - .address_space:  global
        .offset:         72
        .size:           8
        .value_kind:     global_buffer
      - .offset:         80
        .size:           4
        .value_kind:     by_value
      - .address_space:  global
        .offset:         88
        .size:           8
        .value_kind:     global_buffer
      - .address_space:  global
        .offset:         96
        .size:           8
        .value_kind:     global_buffer
    .group_segment_fixed_size: 44928
    .kernarg_segment_align: 8
    .kernarg_segment_size: 104
    .language:       OpenCL C
    .language_version:
      - 2
      - 0
    .max_flat_workgroup_size: 234
    .name:           bluestein_single_back_len936_dim1_dp_op_CI_CI
    .private_segment_fixed_size: 308
    .sgpr_count:     50
    .sgpr_spill_count: 0
    .symbol:         bluestein_single_back_len936_dim1_dp_op_CI_CI.kd
    .uniform_work_group_size: 1
    .uses_dynamic_stack: false
    .vgpr_count:     256
    .vgpr_spill_count: 91
    .wavefront_size: 32
    .workgroup_processor_mode: 1
amdhsa.target:   amdgcn-amd-amdhsa--gfx1201
amdhsa.version:
  - 1
  - 2
...

	.end_amdgpu_metadata
